;; amdgpu-corpus repo=ROCm/rocFFT kind=compiled arch=gfx950 opt=O3
	.text
	.amdgcn_target "amdgcn-amd-amdhsa--gfx950"
	.amdhsa_code_object_version 6
	.protected	bluestein_single_back_len6561_dim1_sp_op_CI_CI ; -- Begin function bluestein_single_back_len6561_dim1_sp_op_CI_CI
	.globl	bluestein_single_back_len6561_dim1_sp_op_CI_CI
	.p2align	8
	.type	bluestein_single_back_len6561_dim1_sp_op_CI_CI,@function
bluestein_single_back_len6561_dim1_sp_op_CI_CI: ; @bluestein_single_back_len6561_dim1_sp_op_CI_CI
; %bb.0:
	s_load_dwordx4 s[4:7], s[0:1], 0x28
	v_mul_u32_u24_e32 v1, 0x10e, v0
	v_add_u32_sdwa v216, s2, v1 dst_sel:DWORD dst_unused:UNUSED_PAD src0_sel:DWORD src1_sel:WORD_1
	v_mov_b32_e32 v217, 0
	s_waitcnt lgkmcnt(0)
	v_cmp_gt_u64_e32 vcc, s[4:5], v[216:217]
	s_and_saveexec_b64 s[2:3], vcc
	s_cbranch_execz .LBB0_2
; %bb.1:
	s_load_dwordx4 s[12:15], s[0:1], 0x18
	s_load_dwordx4 s[8:11], s[0:1], 0x0
	v_mov_b32_e32 v2, s6
	v_mov_b32_e32 v3, s7
	s_movk_i32 s16, 0xf3
	s_waitcnt lgkmcnt(0)
	s_load_dwordx4 s[4:7], s[14:15], 0x0
	v_mul_lo_u16_sdwa v1, v1, s16 dst_sel:DWORD dst_unused:UNUSED_PAD src0_sel:WORD_1 src1_sel:DWORD
	s_load_dwordx4 s[12:15], s[12:13], 0x0
	v_sub_u16_e32 v174, v0, v1
	v_mov_b32_e32 v24, 0x4458
	s_waitcnt lgkmcnt(0)
	v_mad_u64_u32 v[4:5], s[2:3], s6, v216, 0
	v_mov_b32_e32 v0, v5
	v_mad_u64_u32 v[0:1], s[2:3], s7, v216, v[0:1]
	v_accvgpr_write_b32 a2, v0
	v_mad_u64_u32 v[0:1], s[2:3], s14, v216, 0
	v_accvgpr_write_b32 a0, v4
	v_mov_b32_e32 v4, v1
	v_mad_u64_u32 v[4:5], s[2:3], s15, v216, v[4:5]
	v_mov_b32_e32 v1, v4
	v_mad_u64_u32 v[4:5], s[2:3], s12, v174, 0
	;; [unrolled: 2-line block ×3, first 2 shown]
	v_mov_b32_e32 v5, v6
	v_lshl_add_u64 v[0:1], v[0:1], 3, v[2:3]
	v_lshl_add_u64 v[0:1], v[4:5], 3, v[0:1]
	v_lshlrev_b32_e32 v216, 3, v174
	v_mad_u64_u32 v[2:3], s[2:3], s12, v24, v[0:1]
	v_lshl_add_u64 v[16:17], s[8:9], 0, v[216:217]
	s_mul_i32 s2, s13, 0x4458
	s_movk_i32 s6, 0x4000
	v_add_u32_e32 v3, s2, v3
	v_add_co_u32_e32 v10, vcc, s6, v16
	v_mad_u64_u32 v[4:5], s[14:15], s12, v24, v[2:3]
	s_nop 0
	v_addc_co_u32_e32 v11, vcc, 0, v17, vcc
	s_mov_b32 s3, 0x8000
	global_load_dwordx2 v[32:33], v[0:1], off
	v_add_u32_e32 v5, s2, v5
	global_load_dwordx2 v[0:1], v[2:3], off
	v_add_co_u32_e32 v2, vcc, s3, v16
	v_mov_b32_e32 v6, 0xffff7ee8
	s_mul_i32 s3, s13, 0xffff7ee8
	v_mad_u64_u32 v[12:13], s[14:15], s12, v6, v[4:5]
	s_sub_i32 s3, s3, s12
	v_add_u32_e32 v13, s3, v13
	v_addc_co_u32_e32 v3, vcc, 0, v17, vcc
	v_mad_u64_u32 v[14:15], s[14:15], s12, v24, v[12:13]
	global_load_dwordx2 v[52:53], v[10:11], off offset:1112
	global_load_dwordx2 v[48:49], v[2:3], off offset:2224
	global_load_dwordx2 v[40:41], v216, s[8:9]
	v_add_u32_e32 v15, s2, v15
	global_load_dwordx2 v[50:51], v216, s[8:9] offset:1944
	global_load_dwordx2 v[8:9], v[4:5], off
	global_load_dwordx2 v[6:7], v[12:13], off
	s_nop 0
	global_load_dwordx2 v[4:5], v[14:15], off
	global_load_dwordx2 v[44:45], v[10:11], off offset:3056
	v_mad_u64_u32 v[14:15], s[14:15], s12, v24, v[14:15]
	v_mov_b32_e32 v26, 0xffff7ee8
	v_add_u32_e32 v15, s2, v15
	s_mov_b32 s7, 0x9000
	global_load_dwordx2 v[10:11], v[14:15], off
	v_add_co_u32_e32 v12, vcc, s7, v16
	v_mad_u64_u32 v[14:15], s[14:15], s12, v26, v[14:15]
	s_nop 0
	v_addc_co_u32_e32 v13, vcc, 0, v17, vcc
	v_add_u32_e32 v15, s3, v15
	s_movk_i32 s7, 0x5000
	global_load_dwordx2 v[46:47], v[12:13], off offset:72
	global_load_dwordx2 v[18:19], v[14:15], off
	global_load_dwordx2 v[38:39], v216, s[8:9] offset:3888
	v_mad_u64_u32 v[22:23], s[8:9], s12, v24, v[14:15]
	v_add_co_u32_e32 v14, vcc, s7, v16
	v_add_u32_e32 v23, s2, v23
	s_nop 0
	v_addc_co_u32_e32 v15, vcc, 0, v17, vcc
	global_load_dwordx2 v[20:21], v[22:23], off
	global_load_dwordx2 v[42:43], v[14:15], off offset:904
	v_mad_u64_u32 v[22:23], s[8:9], s12, v24, v[22:23]
	v_add_u32_e32 v23, s2, v23
	global_load_dwordx2 v[24:25], v[22:23], off
	global_load_dwordx2 v[34:35], v[12:13], off offset:2016
	s_movk_i32 s7, 0x1000
	v_mad_u64_u32 v[22:23], s[8:9], s12, v26, v[22:23]
	v_add_co_u32_e32 v28, vcc, s7, v16
	v_add_u32_e32 v23, s3, v23
	s_nop 0
	v_addc_co_u32_e32 v29, vcc, 0, v17, vcc
	global_load_dwordx2 v[26:27], v[22:23], off
	global_load_dwordx2 v[36:37], v[28:29], off offset:1736
	s_mov_b32 s8, 0
	v_mov_b32_e32 v175, s8
	global_load_dwordx2 v[68:69], v[12:13], off offset:3960
	s_mov_b64 s[8:9], 0xf3
	v_lshl_add_u64 v[148:149], v[174:175], 0, s[8:9]
	s_mov_b64 s[8:9], 0x1e6
	v_lshl_add_u64 v[150:151], v[174:175], 0, s[8:9]
	;; [unrolled: 2-line block ×3, first 2 shown]
	s_movk_i32 s8, 0x6000
	v_add_u32_e32 v208, 0xf00, v216
	v_add_u32_e32 v199, 0x8880, v216
	s_load_dwordx2 s[0:1], s[0:1], 0x38
	s_waitcnt vmcnt(18)
	v_accvgpr_write_b32 a57, v53
	s_waitcnt vmcnt(16)
	v_mul_f32_e32 v30, v33, v41
	v_mul_f32_e32 v31, v32, v41
	v_accvgpr_write_b32 a12, v40
	v_fmac_f32_e32 v30, v32, v40
	v_fma_f32 v31, v33, v40, -v31
	v_accvgpr_write_b32 a13, v41
	global_load_dwordx2 v[40:41], v[2:3], off offset:280
	v_mul_f32_e32 v2, v1, v53
	v_fmac_f32_e32 v2, v0, v52
	v_mul_f32_e32 v0, v0, v53
	v_fma_f32 v3, v1, v52, -v0
	s_waitcnt vmcnt(15)
	v_mul_f32_e32 v0, v9, v49
	v_mul_f32_e32 v1, v8, v49
	v_fmac_f32_e32 v0, v8, v48
	v_fma_f32 v1, v9, v48, -v1
	ds_write_b64 v216, v[0:1] offset:34992
	s_waitcnt vmcnt(14)
	v_mul_f32_e32 v0, v7, v51
	v_mul_f32_e32 v1, v6, v51
	v_fmac_f32_e32 v0, v6, v50
	v_fma_f32 v1, v7, v50, -v1
	ds_write_b64 v216, v[2:3] offset:17496
	ds_write2_b64 v216, v[30:31], v[0:1] offset1:243
	s_waitcnt vmcnt(12)
	v_mul_f32_e32 v0, v5, v45
	v_mul_f32_e32 v1, v4, v45
	v_fmac_f32_e32 v0, v4, v44
	v_fma_f32 v1, v5, v44, -v1
	v_add_u32_e32 v8, 0x4bc0, v216
	s_waitcnt vmcnt(10)
	v_mul_f32_e32 v2, v11, v47
	v_mul_f32_e32 v3, v10, v47
	s_waitcnt vmcnt(6)
	v_mul_f32_e32 v6, v21, v43
	v_mul_f32_e32 v7, v20, v43
	v_fmac_f32_e32 v6, v20, v42
	v_fma_f32 v7, v21, v42, -v7
	v_mul_f32_e32 v4, v19, v39
	ds_write2_b64 v8, v[0:1], v[6:7] offset0:6 offset1:249
	s_waitcnt vmcnt(4)
	v_mul_f32_e32 v0, v25, v35
	v_mul_f32_e32 v1, v24, v35
	v_fmac_f32_e32 v2, v10, v46
	v_fma_f32 v3, v11, v46, -v3
	v_fmac_f32_e32 v4, v18, v38
	v_mul_f32_e32 v5, v18, v39
	v_fmac_f32_e32 v0, v24, v34
	v_fma_f32 v1, v25, v34, -v1
	v_add_u32_e32 v6, 0x9000, v216
	v_mov_b32_e32 v18, 0x4458
	ds_write2_b64 v6, v[2:3], v[0:1] offset0:9 offset1:252
	v_accvgpr_write_b32 a59, v6
	v_add_co_u32_e32 v0, vcc, s8, v16
	v_mad_u64_u32 v[6:7], s[8:9], s12, v18, v[22:23]
	v_add_u32_e32 v7, s2, v7
	v_mov_b32_e32 v246, v8
	v_addc_co_u32_e32 v1, vcc, 0, v17, vcc
	global_load_dwordx2 v[72:73], v[28:29], off offset:3680
	global_load_dwordx2 v[66:67], v[0:1], off offset:696
	;; [unrolled: 1-line block ×3, first 2 shown]
	global_load_dwordx2 v[8:9], v[6:7], off
	v_mad_u64_u32 v[6:7], s[8:9], s12, v18, v[6:7]
	v_add_u32_e32 v7, s2, v7
	v_mov_b32_e32 v22, 0xffff7ee8
	global_load_dwordx2 v[10:11], v[6:7], off
	v_mad_u64_u32 v[6:7], s[8:9], s12, v22, v[6:7]
	v_add_u32_e32 v7, s3, v7
	global_load_dwordx2 v[12:13], v[6:7], off
	v_mad_u64_u32 v[6:7], s[8:9], s12, v18, v[6:7]
	v_add_u32_e32 v7, s2, v7
	;; [unrolled: 3-line block ×3, first 2 shown]
	s_mov_b32 s8, 0xa000
	v_fma_f32 v5, v19, v38, -v5
	v_accvgpr_write_b32 a34, v42
	global_load_dwordx2 v[18:19], v[6:7], off
	v_add_co_u32_e32 v20, vcc, s8, v16
	v_mad_u64_u32 v[6:7], s[8:9], s12, v22, v[6:7]
	v_accvgpr_write_b32 a35, v43
	v_mov_b32_e32 v42, 0x4458
	v_addc_co_u32_e32 v21, vcc, 0, v17, vcc
	v_add_u32_e32 v7, s3, v7
	s_movk_i32 s8, 0x2000
	global_load_dwordx2 v[22:23], v[6:7], off
	v_add_co_u32_e32 v24, vcc, s8, v16
	v_mad_u64_u32 v[6:7], s[8:9], s12, v42, v[6:7]
	s_waitcnt vmcnt(11)
	v_mul_f32_e32 v2, v27, v37
	v_mul_f32_e32 v3, v26, v37
	v_add_u32_e32 v7, s2, v7
	v_fmac_f32_e32 v2, v26, v36
	v_fma_f32 v3, v27, v36, -v3
	v_addc_co_u32_e32 v25, vcc, 0, v17, vcc
	global_load_dwordx2 v[26:27], v[6:7], off
	global_load_dwordx2 v[64:65], v[24:25], off offset:1528
	global_load_dwordx2 v[60:61], v[20:21], off offset:3752
	;; [unrolled: 1-line block ×4, first 2 shown]
	v_mad_u64_u32 v[0:1], s[8:9], s12, v42, v[6:7]
	v_mov_b32_e32 v28, 0xffff7ee8
	v_add_u32_e32 v1, s2, v1
	global_load_dwordx2 v[6:7], v[0:1], off
	v_mad_u64_u32 v[0:1], s[8:9], s12, v28, v[0:1]
	v_add_u32_e32 v1, s3, v1
	global_load_dwordx2 v[20:21], v[0:1], off
	v_mad_u64_u32 v[0:1], s[8:9], s12, v42, v[0:1]
	v_add_u32_e32 v1, s2, v1
	s_movk_i32 s8, 0x7000
	v_accvgpr_write_b32 a30, v34
	global_load_dwordx2 v[28:29], v[0:1], off
	v_add_co_u32_e32 v30, vcc, s8, v16
	v_mad_u64_u32 v[0:1], s[8:9], s12, v42, v[0:1]
	v_accvgpr_write_b32 a31, v35
	v_mov_b32_e32 v34, 0xffff7ee8
	v_addc_co_u32_e32 v31, vcc, 0, v17, vcc
	v_add_u32_e32 v1, s2, v1
	s_mov_b32 s8, 0xb000
	global_load_dwordx2 v[58:59], v[24:25], off offset:3472
	global_load_dwordx2 v[56:57], v[30:31], off offset:488
	v_add_co_u32_e32 v32, vcc, s8, v16
	global_load_dwordx2 v[24:25], v[0:1], off
	v_mad_u64_u32 v[0:1], s[8:9], s12, v34, v[0:1]
	v_accvgpr_write_b32 a28, v36
	v_addc_co_u32_e32 v33, vcc, 0, v17, vcc
	v_add_u32_e32 v1, s3, v1
	s_movk_i32 s8, 0x3000
	v_accvgpr_write_b32 a29, v37
	global_load_dwordx2 v[34:35], v[0:1], off
	v_add_co_u32_e32 v36, vcc, s8, v16
	v_mad_u64_u32 v[0:1], s[8:9], s12, v42, v[0:1]
	v_accvgpr_write_b32 a55, v49
	v_accvgpr_write_b32 a38, v38
	v_addc_co_u32_e32 v37, vcc, 0, v17, vcc
	v_add_u32_e32 v1, s2, v1
	v_accvgpr_write_b32 a56, v52
	v_accvgpr_write_b32 a54, v48
	v_accvgpr_write_b32 a39, v39
	global_load_dwordx2 v[52:53], v[36:37], off offset:1320
	global_load_dwordx2 v[54:55], v[32:33], off offset:1600
	global_load_dwordx2 v[38:39], v[0:1], off
	global_load_dwordx2 v[48:49], v[30:31], off offset:2432
	v_mad_u64_u32 v[0:1], s[8:9], s12, v42, v[0:1]
	v_accvgpr_write_b32 a53, v51
	v_accvgpr_write_b32 a47, v45
	s_mov_b32 s8, 0xc000
	v_accvgpr_write_b32 a52, v50
	v_accvgpr_write_b32 a46, v44
	v_mov_b32_e32 v44, 0xffff7ee8
	v_add_u32_e32 v1, s2, v1
	v_add_co_u32_e32 v50, vcc, s8, v16
	v_accvgpr_write_b32 a44, v46
	global_load_dwordx2 v[30:31], v[0:1], off
	v_addc_co_u32_e32 v51, vcc, 0, v17, vcc
	v_mad_u64_u32 v[0:1], s[8:9], s12, v44, v[0:1]
	v_accvgpr_write_b32 a45, v47
	global_load_dwordx2 v[46:47], v[36:37], off offset:3264
	global_load_dwordx2 v[42:43], v[50:51], off offset:1392
	v_accvgpr_write_b32 a129, v51
	v_add_u32_e32 v1, s3, v1
	ds_write2_b64 v208, v[4:5], v[2:3] offset0:6 offset1:249
	v_mov_b32_e32 v5, 0x4458
	v_accvgpr_write_b32 a128, v50
	global_load_dwordx2 v[50:51], v[32:33], off offset:3544
                                        ; kill: killed $vgpr32 killed $vgpr33
	s_waitcnt vmcnt(25)
	v_mul_f32_e32 v4, v9, v75
	global_load_dwordx2 v[32:33], v[0:1], off
	v_mad_u64_u32 v[0:1], s[8:9], s12, v5, v[0:1]
	v_add_u32_e32 v1, s2, v1
	global_load_dwordx2 v[2:3], v[0:1], off
	v_mad_u64_u32 v[0:1], s[8:9], s12, v5, v[0:1]
	v_add_u32_e32 v1, s2, v1
	global_load_dwordx2 v[0:1], v[0:1], off
	v_mul_f32_e32 v5, v8, v75
	v_fmac_f32_e32 v4, v8, v74
	v_fma_f32 v5, v9, v74, -v5
	s_waitcnt vmcnt(27)
	v_mul_f32_e32 v8, v11, v69
	v_mul_f32_e32 v9, v10, v69
	v_fmac_f32_e32 v8, v10, v68
	v_fma_f32 v9, v11, v68, -v9
	s_waitcnt vmcnt(26)
	v_mul_f32_e32 v10, v13, v73
	;; [unrolled: 5-line block ×3, first 2 shown]
	v_mul_f32_e32 v13, v14, v67
	v_fmac_f32_e32 v12, v14, v66
	v_fma_f32 v13, v15, v66, -v13
	v_add_u32_e32 v14, 0x5b00, v216
	ds_write2_b64 v14, v[4:5], v[12:13] offset0:4 offset1:247
	s_waitcnt vmcnt(19)
	v_mul_f32_e32 v4, v19, v71
	v_mul_f32_e32 v5, v18, v71
	v_fmac_f32_e32 v4, v18, v70
	v_fma_f32 v5, v19, v70, -v5
	v_add_u32_e32 v12, 0x9f40, v216
	ds_write2_b64 v12, v[8:9], v[4:5] offset0:7 offset1:250
	v_mul_f32_e32 v4, v23, v65
	v_mul_f32_e32 v5, v22, v65
	v_fmac_f32_e32 v4, v22, v64
	v_fma_f32 v5, v23, v64, -v5
	v_add_u32_e32 v8, 0x1e00, v216
	ds_write2_b64 v8, v[10:11], v[4:5] offset0:12 offset1:255
	s_waitcnt vmcnt(18)
	v_mul_f32_e32 v4, v27, v63
	v_mul_f32_e32 v5, v26, v63
	s_waitcnt vmcnt(13)
	v_mul_f32_e32 v10, v29, v57
	v_mul_f32_e32 v11, v28, v57
	v_accvgpr_write_b32 a1, v12
	v_mov_b32_e32 v149, v8
	v_fmac_f32_e32 v4, v26, v62
	v_fma_f32 v5, v27, v62, -v5
	v_mul_f32_e32 v8, v7, v61
	v_fmac_f32_e32 v10, v28, v56
	v_fma_f32 v11, v29, v56, -v11
	v_add_u32_e32 v12, 0x6a00, v216
	v_fmac_f32_e32 v8, v6, v60
	v_mul_f32_e32 v6, v6, v61
	ds_write2_b64 v12, v[4:5], v[10:11] offset0:10 offset1:253
	s_waitcnt vmcnt(9)
	v_mul_f32_e32 v4, v25, v55
	v_mul_f32_e32 v5, v24, v55
	v_fma_f32 v9, v7, v60, -v6
	v_fmac_f32_e32 v4, v24, v54
	v_fma_f32 v5, v25, v54, -v5
	v_add_u32_e32 v10, 0xae80, v216
	v_mul_f32_e32 v6, v21, v59
	v_mul_f32_e32 v7, v20, v59
	ds_write2_b64 v10, v[8:9], v[4:5] offset0:5 offset1:248
	v_mul_f32_e32 v4, v35, v53
	v_mul_f32_e32 v5, v34, v53
	v_fmac_f32_e32 v6, v20, v58
	v_fma_f32 v7, v21, v58, -v7
	v_fmac_f32_e32 v4, v34, v52
	v_fma_f32 v5, v35, v52, -v5
	v_add_u32_e32 v8, 0x2d80, v216
	ds_write2_b64 v8, v[6:7], v[4:5] offset0:2 offset1:245
	v_mov_b32_e32 v198, v8
	s_waitcnt vmcnt(7)
	v_mul_f32_e32 v4, v39, v49
	v_mul_f32_e32 v5, v38, v49
	v_fmac_f32_e32 v4, v38, v48
	v_fma_f32 v5, v39, v48, -v5
                                        ; kill: killed $vgpr36 killed $vgpr37
	v_mov_b32_e32 v209, v14
	v_mov_b32_e32 v36, v12
	v_accvgpr_write_b32 a3, v10
	s_waitcnt vmcnt(3)
	v_mul_f32_e32 v6, v31, v51
	v_mul_f32_e32 v7, v30, v51
	s_waitcnt vmcnt(2)
	v_mul_f32_e32 v8, v33, v47
	v_mul_f32_e32 v9, v32, v47
	v_fmac_f32_e32 v8, v32, v46
	v_fma_f32 v9, v33, v46, -v9
	ds_write_b64 v216, v[8:9] offset:15552
	s_waitcnt vmcnt(1)
	v_mul_f32_e32 v8, v3, v41
	v_fmac_f32_e32 v8, v2, v40
	v_mul_f32_e32 v2, v2, v41
	v_fma_f32 v9, v3, v40, -v2
	v_add_u32_e32 v2, 0x7980, v216
	ds_write2_b64 v2, v[4:5], v[8:9] offset1:243
	v_mov_b32_e32 v44, v2
	s_waitcnt vmcnt(0)
	v_mul_f32_e32 v2, v1, v43
	v_fmac_f32_e32 v2, v0, v42
	v_mul_f32_e32 v0, v0, v43
	v_fmac_f32_e32 v6, v30, v50
	v_fma_f32 v7, v31, v50, -v7
	v_fma_f32 v3, v1, v42, -v0
	v_add_u32_e32 v0, 0xbd80, v216
	v_add_u32_e32 v4, 0x3c80, v216
	ds_write2_b64 v0, v[6:7], v[2:3] offset0:11 offset1:254
	v_accvgpr_write_b32 a58, v0
	s_waitcnt lgkmcnt(0)
	s_barrier
	ds_read2_b64 v[0:3], v4 offset0:8 offset1:251
	ds_read2_b64 v[18:21], v216 offset1:243
	ds_read2_b64 v[22:25], v199 offset0:6 offset1:249
	ds_read2_b64 v[8:11], v149 offset0:12 offset1:255
	;; [unrolled: 1-line block ×3, first 2 shown]
	v_accvgpr_write_b32 a6, v40
	v_mov_b32_e32 v238, v4
	v_add_u32_e32 v4, 0xa700, v216
	v_add_u32_e32 v38, 0xb600, v216
	v_accvgpr_write_b32 a7, v41
	ds_read2_b64 v[26:29], v4 offset0:2 offset1:245
	v_mov_b32_e32 v242, v4
	ds_read2_b64 v[30:33], v36 offset0:10 offset1:253
	v_mov_b32_e32 v239, v36
	ds_read2_b64 v[4:7], v198 offset0:2 offset1:245
	ds_read2_b64 v[34:37], v38 offset0:8 offset1:251
	v_mov_b32_e32 v241, v38
	ds_read2_b64 v[38:41], v44 offset1:243
	s_waitcnt lgkmcnt(7)
	v_add_f32_e32 v45, v2, v22
	v_accvgpr_write_b32 a8, v46
	v_mov_b32_e32 v127, v44
	v_add_f32_e32 v44, v18, v2
	v_fma_f32 v18, -0.5, v45, v18
	v_sub_f32_e32 v45, v3, v23
	v_accvgpr_write_b32 a9, v47
	v_fmamk_f32 v46, v45, 0x3f5db3d7, v18
	v_fmac_f32_e32 v18, 0xbf5db3d7, v45
	v_add_f32_e32 v45, v19, v3
	v_add_f32_e32 v3, v3, v23
	v_fma_f32 v19, -0.5, v3, v19
	v_sub_f32_e32 v2, v2, v22
	v_accvgpr_write_b32 a16, v52
	v_accvgpr_write_b32 a10, v50
	v_fmamk_f32 v47, v2, 0xbf5db3d7, v19
	v_fmac_f32_e32 v19, 0x3f5db3d7, v2
	s_waitcnt lgkmcnt(5)
	v_add_f32_e32 v2, v8, v14
	v_accvgpr_write_b32 a17, v53
	v_accvgpr_write_b32 a14, v48
	;; [unrolled: 1-line block ×3, first 2 shown]
	s_waitcnt lgkmcnt(4)
	v_add_f32_e32 v2, v2, v26
	v_add_f32_e32 v50, v14, v26
	v_sub_f32_e32 v53, v14, v26
	s_waitcnt lgkmcnt(0)
	v_add_f32_e32 v26, v6, v38
	v_accvgpr_write_b32 a15, v49
	v_add_f32_e32 v48, v26, v36
	v_add_f32_e32 v26, v7, v39
	v_accvgpr_write_b32 a32, v64
	v_accvgpr_write_b32 a26, v62
	;; [unrolled: 1-line block ×7, first 2 shown]
	v_sub_f32_e32 v51, v15, v27
	v_add_f32_e32 v3, v9, v15
	v_add_f32_e32 v52, v15, v27
	;; [unrolled: 1-line block ×5, first 2 shown]
	v_mul_lo_u16_e32 v26, 3, v174
	v_accvgpr_write_b32 a33, v65
	v_accvgpr_write_b32 a27, v63
	;; [unrolled: 1-line block ×7, first 2 shown]
	ds_read_b64 v[42:43], v216 offset:50544
	v_add_f32_e32 v44, v44, v22
	v_add_f32_e32 v45, v45, v23
	;; [unrolled: 1-line block ×5, first 2 shown]
	v_sub_f32_e32 v55, v31, v29
	v_add_f32_e32 v15, v15, v29
	v_add_f32_e32 v56, v31, v29
	v_sub_f32_e32 v57, v30, v28
	v_add_f32_e32 v22, v4, v32
	v_add_f32_e32 v58, v32, v34
	;; [unrolled: 3-line block ×3, first 2 shown]
	v_sub_f32_e32 v61, v32, v34
	v_sub_f32_e32 v63, v39, v37
	v_add_f32_e32 v64, v39, v37
	v_lshlrev_b32_e32 v39, 3, v26
	ds_read2_b64 v[26:29], v246 offset0:6 offset1:249
	ds_read2_b64 v[30:33], v208 offset0:6 offset1:249
	s_mov_b64 s[2:3], 0x3cc
	v_lshl_add_u64 v[134:135], v[174:175], 0, s[2:3]
	s_mov_b64 s[2:3], 0x4bf
	v_accvgpr_write_b32 a36, v70
	v_add_f32_e32 v62, v38, v36
	v_sub_f32_e32 v65, v38, v36
	v_add_u32_e32 v38, 0x9780, v216
	v_fma_f32 v9, -0.5, v52, v9
	v_lshl_add_u64 v[218:219], v[174:175], 0, s[2:3]
	s_mov_b64 s[2:3], 0x5b2
	v_accvgpr_write_b32 a37, v71
	v_add_f32_e32 v22, v22, v34
	v_add_f32_e32 v23, v23, v35
	ds_read2_b64 v[34:37], v38 offset0:12 offset1:255
	s_waitcnt lgkmcnt(0)
	s_barrier
	ds_write2_b64 v39, v[44:45], v[46:47] offset1:1
	v_mov_b32_e32 v71, v39
	v_fmamk_f32 v39, v53, 0xbf5db3d7, v9
	v_fmac_f32_e32 v9, 0x3f5db3d7, v53
	v_lshl_add_u64 v[224:225], v[174:175], 0, s[2:3]
	s_mov_b64 s[2:3], 0x6a5
	v_pk_add_f32 v[52:53], v[26:27], v[24:25]
	v_lshl_add_u64 v[226:227], v[174:175], 0, s[2:3]
	s_mov_b64 s[2:3], 0x798
	v_pk_fma_f32 v[52:53], v[52:53], 0.5, v[20:21] op_sel_hi:[1,0,1] neg_lo:[1,0,0] neg_hi:[1,0,0]
	v_pk_add_f32 v[20:21], v[20:21], v[26:27]
	v_lshl_add_u64 v[232:233], v[174:175], 0, s[2:3]
	s_mov_b32 s2, 0x3f5db3d7
	v_pk_add_f32 v[20:21], v[20:21], v[24:25]
	v_pk_add_f32 v[24:25], v[26:27], v[24:25] neg_lo:[0,1] neg_hi:[0,1]
	v_fma_f32 v10, -0.5, v54, v10
	v_pk_mul_f32 v[24:25], v[24:25], s[2:3] op_sel_hi:[1,0]
	v_mul_u32_u24_e32 v54, 3, v148
	v_pk_add_f32 v[26:27], v[52:53], v[24:25] op_sel:[0,1] op_sel_hi:[1,0]
	v_pk_add_f32 v[24:25], v[52:53], v[24:25] op_sel:[0,1] op_sel_hi:[1,0] neg_lo:[0,1] neg_hi:[0,1]
	v_lshlrev_b32_e32 v54, 3, v54
	ds_write_b64 v71, v[18:19] offset:16
	v_mov_b32_e32 v18, v26
	v_mov_b32_e32 v19, v25
	ds_write2_b64 v54, v[20:21], v[18:19] offset1:1
	v_pk_add_f32 v[18:19], v[30:31], v[28:29]
	v_pk_add_f32 v[20:21], v[28:29], v[34:35]
	v_pk_add_f32 v[28:29], v[28:29], v[34:35] neg_lo:[0,1] neg_hi:[0,1]
	v_pk_fma_f32 v[20:21], v[20:21], 0.5, v[30:31] op_sel_hi:[1,0,1] neg_lo:[1,0,0] neg_hi:[1,0,0]
	v_pk_mul_f32 v[28:29], v[28:29], s[2:3] op_sel_hi:[1,0]
	v_mul_u32_u24_e32 v25, 3, v126
	v_mul_u32_u24_e32 v52, 3, v150
	v_pk_add_f32 v[30:31], v[20:21], v[28:29] op_sel:[0,1] op_sel_hi:[1,0]
	v_pk_add_f32 v[20:21], v[20:21], v[28:29] op_sel:[0,1] op_sel_hi:[1,0] neg_lo:[0,1] neg_hi:[0,1]
	v_lshlrev_b32_e32 v26, 3, v25
	v_mov_b32_e32 v25, v27
	v_lshlrev_b32_e32 v52, 3, v52
	v_pk_add_f32 v[18:19], v[18:19], v[34:35]
	ds_write_b64 v54, v[24:25] offset:16
	v_mov_b32_e32 v24, v30
	v_mov_b32_e32 v25, v21
	v_pk_add_f32 v[28:29], v[32:33], v[12:13]
	ds_write2_b64 v52, v[18:19], v[24:25] offset1:1
	v_pk_add_f32 v[18:19], v[12:13], v[36:37]
	v_pk_add_f32 v[12:13], v[12:13], v[36:37] neg_lo:[0,1] neg_hi:[0,1]
	v_mov_b32_e32 v21, v31
	v_pk_fma_f32 v[18:19], v[18:19], 0.5, v[32:33] op_sel_hi:[1,0,1] neg_lo:[1,0,0] neg_hi:[1,0,0]
	v_pk_mul_f32 v[12:13], v[12:13], s[2:3] op_sel_hi:[1,0]
	ds_write_b64 v52, v[20:21] offset:16
	v_pk_add_f32 v[20:21], v[18:19], v[12:13] op_sel:[0,1] op_sel_hi:[1,0]
	v_pk_add_f32 v[12:13], v[18:19], v[12:13] op_sel:[0,1] op_sel_hi:[1,0] neg_lo:[0,1] neg_hi:[0,1]
	v_fma_f32 v8, -0.5, v50, v8
	v_mov_b32_e32 v19, v13
	v_mov_b32_e32 v13, v21
	ds_write_b64 v26, v[12:13] offset:16
	v_mul_u32_u24_e32 v12, 3, v134
	v_mov_b32_e32 v240, v38
	v_fmamk_f32 v38, v51, 0x3f5db3d7, v8
	v_pk_add_f32 v[28:29], v[28:29], v[36:37]
	v_mov_b32_e32 v18, v20
	v_lshlrev_b32_e32 v12, 3, v12
	v_accvgpr_write_b32 a48, v68
	v_accvgpr_write_b32 a40, v66
	v_fmac_f32_e32 v8, 0xbf5db3d7, v51
	v_fmac_f32_e32 v11, -0.5, v56
	ds_write2_b64 v26, v[28:29], v[18:19] offset1:1
	ds_write2_b64 v12, v[2:3], v[38:39] offset1:1
	ds_write_b64 v12, v[8:9] offset:16
	v_mul_u32_u24_e32 v2, 3, v218
	v_accvgpr_write_b32 a49, v69
	v_accvgpr_write_b32 a41, v67
	v_add_f32_e32 v66, v0, v40
	v_add_f32_e32 v67, v40, v42
	v_sub_f32_e32 v68, v41, v43
	v_add_f32_e32 v44, v1, v41
	v_add_f32_e32 v69, v41, v43
	v_sub_f32_e32 v70, v40, v42
	v_fmamk_f32 v40, v55, 0x3f5db3d7, v10
	v_fmamk_f32 v41, v57, 0xbf5db3d7, v11
	v_lshlrev_b32_e32 v2, 3, v2
	v_fmac_f32_e32 v10, 0xbf5db3d7, v55
	v_fmac_f32_e32 v11, 0x3f5db3d7, v57
	v_fma_f32 v4, -0.5, v58, v4
	v_fma_f32 v5, -0.5, v60, v5
	ds_write2_b64 v2, v[14:15], v[40:41] offset1:1
	ds_write_b64 v2, v[10:11] offset:16
	v_accvgpr_write_b32 a153, v2
	v_mul_u32_u24_e32 v2, 3, v224
	v_add_f32_e32 v43, v44, v43
	v_fmamk_f32 v44, v59, 0x3f5db3d7, v4
	v_fmamk_f32 v45, v61, 0xbf5db3d7, v5
	v_lshlrev_b32_e32 v2, 3, v2
	v_fmac_f32_e32 v4, 0xbf5db3d7, v59
	v_fmac_f32_e32 v5, 0x3f5db3d7, v61
	v_fma_f32 v6, -0.5, v62, v6
	v_fmac_f32_e32 v7, -0.5, v64
	ds_write2_b64 v2, v[22:23], v[44:45] offset1:1
	ds_write_b64 v2, v[4:5] offset:16
	v_accvgpr_write_b32 a65, v2
	v_mul_u32_u24_e32 v2, 3, v226
	v_fmamk_f32 v46, v63, 0x3f5db3d7, v6
	v_fmamk_f32 v47, v65, 0xbf5db3d7, v7
	v_lshlrev_b32_e32 v2, 3, v2
	v_fmac_f32_e32 v6, 0xbf5db3d7, v63
	v_fmac_f32_e32 v7, 0x3f5db3d7, v65
	v_fma_f32 v0, -0.5, v67, v0
	v_fmac_f32_e32 v1, -0.5, v69
	ds_write2_b64 v2, v[48:49], v[46:47] offset1:1
	ds_write_b64 v2, v[6:7] offset:16
	v_accvgpr_write_b32 a63, v2
	v_mul_u32_u24_e32 v2, 3, v232
	v_add_f32_e32 v42, v66, v42
	v_fmamk_f32 v50, v68, 0x3f5db3d7, v0
	v_fmac_f32_e32 v0, 0xbf5db3d7, v68
	v_fmamk_f32 v51, v70, 0xbf5db3d7, v1
	v_fmac_f32_e32 v1, 0x3f5db3d7, v70
	v_lshlrev_b32_e32 v2, 3, v2
	s_mov_b32 s3, 0xaaab
	ds_write2_b64 v2, v[42:43], v[50:51] offset1:1
	ds_write_b64 v2, v[0:1] offset:16
	v_mul_u32_u24_sdwa v0, v226, s3 dst_sel:DWORD dst_unused:UNUSED_PAD src0_sel:WORD_0 src1_sel:DWORD
	v_mul_u32_u24_sdwa v1, v232, s3 dst_sel:DWORD dst_unused:UNUSED_PAD src0_sel:WORD_0 src1_sel:DWORD
	v_lshrrev_b32_e32 v48, 17, v0
	v_lshrrev_b32_e32 v46, 17, v1
	v_mul_lo_u16_e32 v0, 3, v48
	v_mul_lo_u16_e32 v1, 3, v46
	v_sub_u16_e32 v47, v232, v1
	v_sub_u16_e32 v49, v226, v0
	v_lshlrev_b16_e32 v1, 1, v47
	v_lshlrev_b16_e32 v0, 1, v49
	v_lshlrev_b32_e32 v1, 3, v1
	v_lshlrev_b32_e32 v0, 3, v0
	s_waitcnt lgkmcnt(0)
	s_barrier
	global_load_dwordx4 v[104:107], v1, s[10:11]
	global_load_dwordx4 v[20:23], v0, s[10:11]
	v_mul_u32_u24_sdwa v0, v224, s3 dst_sel:DWORD dst_unused:UNUSED_PAD src0_sel:WORD_0 src1_sel:DWORD
	v_lshrrev_b32_e32 v50, 17, v0
	v_mul_lo_u16_e32 v0, 3, v50
	v_sub_u16_e32 v51, v224, v0
	v_lshlrev_b16_e32 v0, 1, v51
	v_lshlrev_b32_e32 v0, 3, v0
	v_accvgpr_write_b32 a67, v12
	global_load_dwordx4 v[12:15], v0, s[10:11]
	v_mul_u32_u24_sdwa v0, v218, s3 dst_sel:DWORD dst_unused:UNUSED_PAD src0_sel:WORD_0 src1_sel:DWORD
	v_accvgpr_write_b32 a157, v52
	v_lshrrev_b32_e32 v52, 17, v0
	v_mul_lo_u16_e32 v0, 3, v52
	v_sub_u16_e32 v53, v218, v0
	v_lshlrev_b16_e32 v0, 1, v53
	v_lshlrev_b32_e32 v0, 3, v0
	global_load_dwordx4 v[8:11], v0, s[10:11]
	v_mul_u32_u24_sdwa v0, v134, s3 dst_sel:DWORD dst_unused:UNUSED_PAD src0_sel:WORD_0 src1_sel:DWORD
	v_lshrrev_b32_e32 v96, 17, v0
	v_mul_lo_u16_e32 v0, 3, v96
	v_sub_u16_e32 v97, v134, v0
	v_lshlrev_b16_e32 v0, 1, v97
	v_lshlrev_b32_e32 v0, 3, v0
	global_load_dwordx4 v[28:31], v0, s[10:11]
	v_mul_u32_u24_sdwa v0, v126, s3 dst_sel:DWORD dst_unused:UNUSED_PAD src0_sel:WORD_0 src1_sel:DWORD
	;; [unrolled: 7-line block ×3, first 2 shown]
	v_lshrrev_b32_e32 v100, 17, v0
	v_mul_lo_u16_e32 v0, 3, v100
	v_sub_u16_e32 v101, v150, v0
	v_lshlrev_b16_e32 v0, 1, v101
	v_lshlrev_b32_e32 v0, 3, v0
	v_accvgpr_write_b32 a161, v71
	global_load_dwordx4 v[68:71], v0, s[10:11]
	v_mul_u32_u24_sdwa v0, v148, s3 dst_sel:DWORD dst_unused:UNUSED_PAD src0_sel:WORD_0 src1_sel:DWORD
	v_lshrrev_b32_e32 v102, 17, v0
	v_mul_lo_u16_e32 v0, 3, v102
	v_sub_u16_e32 v103, v148, v0
	v_lshlrev_b16_e32 v0, 1, v103
	v_lshlrev_b32_e32 v0, 3, v0
	global_load_dwordx4 v[80:83], v0, s[10:11]
	s_movk_i32 s3, 0xab
	v_mul_lo_u16_sdwa v0, v174, s3 dst_sel:DWORD dst_unused:UNUSED_PAD src0_sel:BYTE_0 src1_sel:DWORD
	v_lshrrev_b16_e32 v66, 9, v0
	v_mul_lo_u16_e32 v0, 3, v66
	v_sub_u16_e32 v0, v174, v0
	v_and_b32_e32 v67, 0xff, v0
	v_lshlrev_b32_e32 v0, 4, v67
	global_load_dwordx4 v[88:91], v0, s[10:11]
	ds_read2_b64 v[38:41], v127 offset1:243
	v_accvgpr_write_b32 a163, v54
	ds_read2_b64 v[54:57], v241 offset0:8 offset1:251
	v_accvgpr_write_b32 a61, v2
	ds_read2_b64 v[58:61], v239 offset0:10 offset1:253
	v_accvgpr_write_b32 a68, v26
	v_accvgpr_write_b32 a50, v74
	;; [unrolled: 1-line block ×5, first 2 shown]
	v_mov_b32_e32 v233, v217
	s_waitcnt vmcnt(8) lgkmcnt(2)
	v_pk_mul_f32 v[2:3], v[40:41], v[104:105] op_sel:[0,1]
	s_nop 0
	v_pk_fma_f32 v[0:1], v[40:41], v[104:105], v[2:3] op_sel:[0,0,1] op_sel_hi:[1,1,0] neg_lo:[0,0,1] neg_hi:[0,0,1]
	v_pk_fma_f32 v[2:3], v[40:41], v[104:105], v[2:3] op_sel:[0,0,1] op_sel_hi:[1,0,0]
	s_waitcnt vmcnt(7)
	v_pk_mul_f32 v[4:5], v[38:39], v[20:21] op_sel:[0,1]
	v_mov_b32_e32 v2, v23
	v_pk_fma_f32 v[36:37], v[38:39], v[20:21], v[4:5] op_sel:[0,0,1] op_sel_hi:[1,1,0] neg_lo:[0,0,1] neg_hi:[0,0,1]
	v_pk_fma_f32 v[38:39], v[38:39], v[20:21], v[4:5] op_sel:[0,0,1] op_sel_hi:[1,0,0]
	s_waitcnt lgkmcnt(1)
	v_pk_mul_f32 v[4:5], v[56:57], v[2:3] op_sel_hi:[1,0]
	v_accvgpr_write_b32 a120, v22
	s_waitcnt vmcnt(6)
	v_mov_b32_e32 v2, v15
	v_pk_mul_f32 v[6:7], v[54:55], v[2:3] op_sel_hi:[1,0]
	v_pk_fma_f32 v[18:19], v[56:57], v[22:23], v[4:5] op_sel:[0,0,1] op_sel_hi:[1,1,0] neg_lo:[0,0,1] neg_hi:[0,0,1]
	v_pk_fma_f32 v[40:41], v[56:57], v[22:23], v[4:5] op_sel:[0,0,1] op_sel_hi:[1,0,0]
	v_pk_fma_f32 v[42:43], v[54:55], v[14:15], v[6:7] op_sel:[0,0,1] op_sel_hi:[1,1,0] neg_lo:[0,0,1] neg_hi:[0,0,1]
	v_pk_fma_f32 v[6:7], v[54:55], v[14:15], v[6:7] op_sel:[0,0,1] op_sel_hi:[1,0,0]
	ds_read2_b64 v[54:57], v242 offset0:2 offset1:245
	v_accvgpr_write_b32 a122, v23
	v_accvgpr_write_b32 a119, v21
	;; [unrolled: 1-line block ×3, first 2 shown]
	s_waitcnt vmcnt(5)
	v_mov_b64_e32 v[22:23], v[10:11]
	s_waitcnt lgkmcnt(1)
	v_pk_mul_f32 v[4:5], v[60:61], v[12:13] op_sel:[0,1]
	v_accvgpr_write_b32 a108, v14
	v_mov_b64_e32 v[20:21], v[8:9]
	v_mov_b32_e32 v2, v23
	v_pk_fma_f32 v[44:45], v[60:61], v[12:13], v[4:5] op_sel:[0,0,1] op_sel_hi:[1,1,0] neg_lo:[0,0,1] neg_hi:[0,0,1]
	v_pk_fma_f32 v[4:5], v[60:61], v[12:13], v[4:5] op_sel:[0,0,1] op_sel_hi:[1,0,0]
	v_accvgpr_write_b32 a107, v13
	v_accvgpr_write_b32 a106, v12
	v_pk_mul_f32 v[8:9], v[58:59], v[20:21] op_sel:[0,1]
	s_waitcnt lgkmcnt(0)
	v_pk_mul_f32 v[12:13], v[56:57], v[2:3] op_sel_hi:[1,0]
	v_accvgpr_write_b32 a110, v15
	v_pk_fma_f32 v[10:11], v[58:59], v[20:21], v[8:9] op_sel:[0,0,1] op_sel_hi:[1,1,0] neg_lo:[0,0,1] neg_hi:[0,0,1]
	v_pk_fma_f32 v[8:9], v[58:59], v[20:21], v[8:9] op_sel:[0,0,1] op_sel_hi:[1,0,0]
	v_pk_fma_f32 v[14:15], v[56:57], v[22:23], v[12:13] op_sel:[0,0,1] op_sel_hi:[1,1,0] neg_lo:[0,0,1] neg_hi:[0,0,1]
	v_pk_fma_f32 v[12:13], v[56:57], v[22:23], v[12:13] op_sel:[0,0,1] op_sel_hi:[1,0,0]
	ds_read2_b64 v[56:59], v209 offset0:4 offset1:247
	v_accvgpr_write_b32 a102, v22
	s_waitcnt vmcnt(4)
	v_mov_b32_e32 v2, v31
	v_accvgpr_write_b32 a96, v30
	v_accvgpr_write_b32 a101, v21
	s_waitcnt lgkmcnt(0)
	v_pk_mul_f32 v[24:25], v[58:59], v[28:29] op_sel:[0,1]
	v_accvgpr_write_b32 a100, v20
	v_pk_fma_f32 v[26:27], v[58:59], v[28:29], v[24:25] op_sel:[0,0,1] op_sel_hi:[1,1,0] neg_lo:[0,0,1] neg_hi:[0,0,1]
	v_pk_fma_f32 v[24:25], v[58:59], v[28:29], v[24:25] op_sel:[0,0,1] op_sel_hi:[1,0,0]
	ds_read2_b64 v[58:61], v240 offset0:12 offset1:255
	v_pk_mul_f32 v[20:21], v[54:55], v[2:3] op_sel_hi:[1,0]
	v_accvgpr_write_b32 a95, v29
	v_accvgpr_write_b32 a94, v28
	s_waitcnt vmcnt(3)
	v_pk_mul_f32 v[28:29], v[56:57], v[62:63] op_sel:[0,1]
	v_accvgpr_write_b32 a104, v23
	v_accvgpr_write_b32 a98, v31
	v_pk_fma_f32 v[22:23], v[54:55], v[30:31], v[20:21] op_sel:[0,0,1] op_sel_hi:[1,1,0] neg_lo:[0,0,1] neg_hi:[0,0,1]
	v_pk_fma_f32 v[20:21], v[54:55], v[30:31], v[20:21] op_sel:[0,0,1] op_sel_hi:[1,0,0]
	v_pk_fma_f32 v[30:31], v[56:57], v[62:63], v[28:29] op_sel:[0,0,1] op_sel_hi:[1,1,0] neg_lo:[0,0,1] neg_hi:[0,0,1]
	v_pk_fma_f32 v[28:29], v[56:57], v[62:63], v[28:29] op_sel:[0,0,1] op_sel_hi:[1,0,0]
	ds_read2_b64 v[54:57], v246 offset0:6 offset1:249
	v_mov_b32_e32 v2, v65
	s_waitcnt lgkmcnt(1)
	v_pk_mul_f32 v[32:33], v[60:61], v[2:3] op_sel_hi:[1,0]
	s_waitcnt vmcnt(2)
	v_mov_b32_e32 v2, v71
	v_pk_fma_f32 v[34:35], v[60:61], v[64:65], v[32:33] op_sel:[0,0,1] op_sel_hi:[1,1,0] neg_lo:[0,0,1] neg_hi:[0,0,1]
	v_pk_fma_f32 v[32:33], v[60:61], v[64:65], v[32:33] op_sel:[0,0,1] op_sel_hi:[1,0,0]
	v_pk_mul_f32 v[60:61], v[58:59], v[2:3] op_sel_hi:[1,0]
	v_accvgpr_write_b32 a90, v64
	v_pk_fma_f32 v[72:73], v[58:59], v[70:71], v[60:61] op_sel:[0,0,1] op_sel_hi:[1,1,0] neg_lo:[0,0,1] neg_hi:[0,0,1]
	v_pk_fma_f32 v[74:75], v[58:59], v[70:71], v[60:61] op_sel:[0,0,1] op_sel_hi:[1,0,0]
	s_waitcnt lgkmcnt(0)
	v_pk_mul_f32 v[58:59], v[56:57], v[68:69] op_sel:[0,1]
	v_accvgpr_write_b32 a92, v65
	v_pk_fma_f32 v[76:77], v[56:57], v[68:69], v[58:59] op_sel:[0,0,1] op_sel_hi:[1,1,0] neg_lo:[0,0,1] neg_hi:[0,0,1]
	v_pk_fma_f32 v[78:79], v[56:57], v[68:69], v[58:59] op_sel:[0,0,1] op_sel_hi:[1,0,0]
	ds_read2_b64 v[56:59], v199 offset0:6 offset1:249
	v_accvgpr_write_b32 a89, v63
	v_accvgpr_write_b32 a88, v62
	s_waitcnt vmcnt(1)
	v_mov_b64_e32 v[62:63], v[80:81]
	v_mov_b64_e32 v[64:65], v[82:83]
	v_pk_mul_f32 v[60:61], v[54:55], v[62:63] op_sel:[0,1]
	v_mov_b32_e32 v2, v65
	v_pk_fma_f32 v[80:81], v[54:55], v[62:63], v[60:61] op_sel:[0,0,1] op_sel_hi:[1,1,0] neg_lo:[0,0,1] neg_hi:[0,0,1]
	v_pk_fma_f32 v[82:83], v[54:55], v[62:63], v[60:61] op_sel:[0,0,1] op_sel_hi:[1,0,0]
	s_waitcnt lgkmcnt(0)
	v_pk_mul_f32 v[54:55], v[58:59], v[2:3] op_sel_hi:[1,0]
	s_waitcnt vmcnt(0)
	v_mov_b32_e32 v2, v91
	v_pk_fma_f32 v[84:85], v[58:59], v[64:65], v[54:55] op_sel:[0,0,1] op_sel_hi:[1,1,0] neg_lo:[0,0,1] neg_hi:[0,0,1]
	v_pk_fma_f32 v[86:87], v[58:59], v[64:65], v[54:55] op_sel:[0,0,1] op_sel_hi:[1,0,0]
	ds_read2_b64 v[58:61], v238 offset0:8 offset1:251
	v_accvgpr_write_b32 a78, v64
	v_pk_mul_f32 v[54:55], v[56:57], v[2:3] op_sel_hi:[1,0]
	v_accvgpr_write_b32 a77, v63
	v_accvgpr_write_b32 a76, v62
	v_pk_fma_f32 v[62:63], v[56:57], v[90:91], v[54:55] op_sel:[0,0,1] op_sel_hi:[1,1,0] neg_lo:[0,0,1] neg_hi:[0,0,1]
	v_pk_fma_f32 v[54:55], v[56:57], v[90:91], v[54:55] op_sel:[0,0,1] op_sel_hi:[1,0,0]
	s_waitcnt lgkmcnt(0)
	v_pk_mul_f32 v[56:57], v[60:61], v[88:89] op_sel:[0,1]
	v_accvgpr_write_b32 a80, v65
	v_pk_fma_f32 v[64:65], v[60:61], v[88:89], v[56:57] op_sel:[0,0,1] op_sel_hi:[1,1,0] neg_lo:[0,0,1] neg_hi:[0,0,1]
	v_pk_fma_f32 v[56:57], v[60:61], v[88:89], v[56:57] op_sel:[0,0,1] op_sel_hi:[1,0,0]
	v_mov_b32_e32 v63, v55
	v_mov_b32_e32 v65, v57
	ds_read2_b64 v[54:57], v216 offset1:243
	v_accvgpr_write_b32 a114, v90
	v_accvgpr_write_b32 a113, v89
	;; [unrolled: 1-line block ×3, first 2 shown]
	v_mov_b32_e32 v81, v83
	s_waitcnt lgkmcnt(0)
	v_pk_add_f32 v[60:61], v[54:55], v[64:65]
	v_mov_b32_e32 v85, v87
	v_pk_add_f32 v[88:89], v[60:61], v[62:63]
	v_pk_add_f32 v[60:61], v[64:65], v[62:63]
	v_pk_add_f32 v[62:63], v[64:65], v[62:63] neg_lo:[0,1] neg_hi:[0,1]
	v_accvgpr_write_b32 a84, v70
	v_pk_fma_f32 v[54:55], v[60:61], 0.5, v[54:55] op_sel_hi:[1,0,1] neg_lo:[1,0,0] neg_hi:[1,0,0]
	v_pk_mul_f32 v[60:61], v[62:63], s[2:3] op_sel_hi:[1,0]
	v_mul_u32_u24_e32 v1, 9, v66
	v_pk_add_f32 v[82:83], v[80:81], v[84:85]
	v_accvgpr_write_b32 a86, v71
	v_accvgpr_write_b32 a83, v69
	;; [unrolled: 1-line block ×4, first 2 shown]
	v_pk_add_f32 v[90:91], v[54:55], v[60:61] op_sel:[0,1] op_sel_hi:[1,0]
	v_pk_add_f32 v[54:55], v[54:55], v[60:61] op_sel:[0,1] op_sel_hi:[1,0] neg_lo:[0,1] neg_hi:[0,1]
	v_add_lshl_u32 v1, v1, v67, 3
	ds_read_b64 v[92:93], v216 offset:50544
	ds_read2_b64 v[60:63], v198 offset0:2 offset1:245
	ds_read2_b64 v[64:67], v149 offset0:12 offset1:255
	;; [unrolled: 1-line block ×3, first 2 shown]
	v_pk_fma_f32 v[82:83], v[82:83], 0.5, v[56:57] op_sel_hi:[1,0,1] neg_lo:[1,0,0] neg_hi:[1,0,0]
	v_pk_add_f32 v[56:57], v[56:57], v[80:81]
	v_pk_add_f32 v[80:81], v[80:81], v[84:85] neg_lo:[0,1] neg_hi:[0,1]
	v_mov_b32_e32 v94, v90
	v_mov_b32_e32 v95, v55
	v_pk_mul_f32 v[80:81], v[80:81], s[2:3] op_sel_hi:[1,0]
	v_mov_b32_e32 v55, v91
	s_waitcnt lgkmcnt(0)
	s_barrier
	ds_write2_b64 v1, v[88:89], v[94:95] offset1:3
	v_pk_add_f32 v[86:87], v[82:83], v[80:81] op_sel:[0,1] op_sel_hi:[1,0] neg_lo:[0,1] neg_hi:[0,1]
	v_pk_add_f32 v[80:81], v[82:83], v[80:81] op_sel:[0,1] op_sel_hi:[1,0]
	ds_write_b64 v1, v[54:55] offset:48
	v_accvgpr_write_b32 a69, v1
	v_mad_legacy_u16 v1, v102, 9, v103
	v_pk_add_f32 v[54:55], v[56:57], v[84:85]
	v_lshlrev_b32_e32 v1, 3, v1
	v_mov_b32_e32 v56, v80
	v_mov_b32_e32 v57, v87
	v_mov_b32_e32 v77, v79
	v_mov_b32_e32 v73, v75
	ds_write2_b64 v1, v[54:55], v[56:57] offset1:3
	v_pk_add_f32 v[54:55], v[76:77], v[72:73]
	v_pk_add_f32 v[56:57], v[76:77], v[72:73] neg_lo:[0,1] neg_hi:[0,1]
	v_pk_fma_f32 v[54:55], v[54:55], 0.5, v[68:69] op_sel_hi:[1,0,1] neg_lo:[1,0,0] neg_hi:[1,0,0]
	v_pk_mul_f32 v[56:57], v[56:57], s[2:3] op_sel_hi:[1,0]
	v_mov_b32_e32 v87, v81
	v_mov_b32_e32 v31, v29
	v_mov_b32_e32 v35, v33
	v_pk_add_f32 v[74:75], v[54:55], v[56:57] op_sel:[0,1] op_sel_hi:[1,0] neg_lo:[0,1] neg_hi:[0,1]
	v_pk_add_f32 v[54:55], v[54:55], v[56:57] op_sel:[0,1] op_sel_hi:[1,0]
	ds_write_b64 v1, v[86:87] offset:48
	v_accvgpr_write_b32 a73, v1
	v_pk_add_f32 v[56:57], v[68:69], v[76:77]
	v_mad_legacy_u16 v1, v100, 9, v101
	v_pk_add_f32 v[28:29], v[30:31], v[34:35]
	v_pk_add_f32 v[32:33], v[70:71], v[30:31]
	v_pk_add_f32 v[30:31], v[30:31], v[34:35] neg_lo:[0,1] neg_hi:[0,1]
	v_pk_add_f32 v[56:57], v[56:57], v[72:73]
	v_lshlrev_b32_e32 v1, 3, v1
	v_mov_b32_e32 v68, v54
	v_mov_b32_e32 v69, v75
	v_pk_fma_f32 v[28:29], v[28:29], 0.5, v[70:71] op_sel_hi:[1,0,1] neg_lo:[1,0,0] neg_hi:[1,0,0]
	v_pk_mul_f32 v[30:31], v[30:31], s[2:3] op_sel_hi:[1,0]
	v_mov_b32_e32 v75, v55
	v_mov_b32_e32 v27, v25
	;; [unrolled: 1-line block ×3, first 2 shown]
	ds_write2_b64 v1, v[56:57], v[68:69] offset1:3
	v_pk_add_f32 v[56:57], v[28:29], v[30:31] op_sel:[0,1] op_sel_hi:[1,0] neg_lo:[0,1] neg_hi:[0,1]
	v_pk_add_f32 v[28:29], v[28:29], v[30:31] op_sel:[0,1] op_sel_hi:[1,0]
	ds_write_b64 v1, v[74:75] offset:48
	v_accvgpr_write_b32 a75, v1
	v_mad_legacy_u16 v1, v98, 9, v99
	v_pk_add_f32 v[20:21], v[26:27], v[22:23]
	v_pk_add_f32 v[24:25], v[26:27], v[22:23] neg_lo:[0,1] neg_hi:[0,1]
	v_pk_add_f32 v[30:31], v[32:33], v[34:35]
	v_lshlrev_b32_e32 v1, 3, v1
	v_mov_b32_e32 v32, v28
	v_mov_b32_e32 v33, v57
	v_pk_fma_f32 v[20:21], v[20:21], 0.5, v[64:65] op_sel_hi:[1,0,1] neg_lo:[1,0,0] neg_hi:[1,0,0]
	v_pk_mul_f32 v[24:25], v[24:25], s[2:3] op_sel_hi:[1,0]
	v_mov_b32_e32 v57, v29
	v_mov_b32_e32 v11, v9
	;; [unrolled: 1-line block ×3, first 2 shown]
	ds_write2_b64 v1, v[30:31], v[32:33] offset1:3
	v_pk_add_f32 v[30:31], v[20:21], v[24:25] op_sel:[0,1] op_sel_hi:[1,0] neg_lo:[0,1] neg_hi:[0,1]
	v_pk_add_f32 v[20:21], v[20:21], v[24:25] op_sel:[0,1] op_sel_hi:[1,0]
	ds_write_b64 v1, v[56:57] offset:48
	v_accvgpr_write_b32 a79, v1
	v_pk_add_f32 v[24:25], v[64:65], v[26:27]
	v_mad_legacy_u16 v1, v96, 9, v97
	v_pk_add_f32 v[8:9], v[10:11], v[14:15]
	v_pk_add_f32 v[12:13], v[66:67], v[10:11]
	v_pk_add_f32 v[10:11], v[10:11], v[14:15] neg_lo:[0,1] neg_hi:[0,1]
	v_pk_add_f32 v[22:23], v[24:25], v[22:23]
	v_lshlrev_b32_e32 v1, 3, v1
	v_mov_b32_e32 v24, v20
	v_mov_b32_e32 v25, v31
	v_pk_fma_f32 v[8:9], v[8:9], 0.5, v[66:67] op_sel_hi:[1,0,1] neg_lo:[1,0,0] neg_hi:[1,0,0]
	v_pk_mul_f32 v[10:11], v[10:11], s[2:3] op_sel_hi:[1,0]
	v_mov_b32_e32 v31, v21
	v_mov_b32_e32 v45, v5
	;; [unrolled: 1-line block ×3, first 2 shown]
	ds_write2_b64 v1, v[22:23], v[24:25] offset1:3
	v_pk_add_f32 v[22:23], v[8:9], v[10:11] op_sel:[0,1] op_sel_hi:[1,0] neg_lo:[0,1] neg_hi:[0,1]
	v_pk_add_f32 v[8:9], v[8:9], v[10:11] op_sel:[0,1] op_sel_hi:[1,0]
	ds_write_b64 v1, v[30:31] offset:48
	v_accvgpr_write_b32 a81, v1
	v_mad_legacy_u16 v1, v52, 9, v53
	v_pk_add_f32 v[4:5], v[44:45], v[42:43]
	v_pk_add_f32 v[6:7], v[44:45], v[42:43] neg_lo:[0,1] neg_hi:[0,1]
	v_pk_add_f32 v[10:11], v[12:13], v[14:15]
	v_lshlrev_b32_e32 v1, 3, v1
	v_mov_b32_e32 v12, v8
	v_mov_b32_e32 v13, v23
	v_pk_fma_f32 v[4:5], v[4:5], 0.5, v[60:61] op_sel_hi:[1,0,1] neg_lo:[1,0,0] neg_hi:[1,0,0]
	v_pk_mul_f32 v[6:7], v[6:7], s[2:3] op_sel_hi:[1,0]
	v_mov_b32_e32 v23, v9
	ds_write2_b64 v1, v[10:11], v[12:13] offset1:3
	v_pk_add_f32 v[10:11], v[4:5], v[6:7] op_sel:[0,1] op_sel_hi:[1,0] neg_lo:[0,1] neg_hi:[0,1]
	v_pk_add_f32 v[4:5], v[4:5], v[6:7] op_sel:[0,1] op_sel_hi:[1,0]
	ds_write_b64 v1, v[22:23] offset:48
	v_accvgpr_write_b32 a85, v1
	v_pk_add_f32 v[6:7], v[60:61], v[44:45]
	v_mad_legacy_u16 v1, v50, 9, v51
	v_pk_add_f32 v[6:7], v[6:7], v[42:43]
	v_lshlrev_b32_e32 v1, 3, v1
	v_mov_b32_e32 v8, v4
	v_mov_b32_e32 v9, v11
	;; [unrolled: 1-line block ×4, first 2 shown]
	ds_write2_b64 v1, v[6:7], v[8:9] offset1:3
	v_pk_add_f32 v[6:7], v[36:37], v[18:19]
	v_pk_add_f32 v[12:13], v[36:37], v[18:19] neg_lo:[0,1] neg_hi:[0,1]
	v_pk_fma_f32 v[6:7], v[6:7], 0.5, v[62:63] op_sel_hi:[1,0,1] neg_lo:[1,0,0] neg_hi:[1,0,0]
	v_pk_mul_f32 v[12:13], v[12:13], s[2:3] op_sel_hi:[1,0]
	v_mov_b32_e32 v11, v5
	v_pk_add_f32 v[8:9], v[62:63], v[36:37]
	v_pk_add_f32 v[14:15], v[6:7], v[12:13] op_sel:[0,1] op_sel_hi:[1,0] neg_lo:[0,1] neg_hi:[0,1]
	v_pk_add_f32 v[6:7], v[6:7], v[12:13] op_sel:[0,1] op_sel_hi:[1,0]
	ds_write_b64 v1, v[10:11] offset:48
	v_accvgpr_write_b32 a87, v1
	v_mad_legacy_u16 v1, v48, 9, v49
	v_pk_add_f32 v[4:5], v[8:9], v[18:19]
	v_lshlrev_b32_e32 v1, 3, v1
	v_mov_b32_e32 v8, v6
	v_mov_b32_e32 v9, v15
	ds_write2_b64 v1, v[4:5], v[8:9] offset1:3
	v_mov_b32_e32 v4, v107
	v_mov_b32_e32 v6, v1
	;; [unrolled: 1-line block ×3, first 2 shown]
	v_pk_mul_f32 v[2:3], v[92:93], v[4:5] op_sel_hi:[1,0]
	v_pk_add_f32 v[8:9], v[58:59], v[0:1]
	v_pk_fma_f32 v[4:5], v[92:93], v[106:107], v[2:3] op_sel:[0,0,1] op_sel_hi:[1,1,0] neg_lo:[0,0,1] neg_hi:[0,0,1]
	v_pk_fma_f32 v[2:3], v[92:93], v[106:107], v[2:3] op_sel:[0,0,1] op_sel_hi:[1,0,0]
	v_mov_b32_e32 v15, v7
	v_mov_b32_e32 v5, v3
	v_pk_add_f32 v[2:3], v[0:1], v[4:5]
	v_pk_add_f32 v[0:1], v[0:1], v[4:5] neg_lo:[0,1] neg_hi:[0,1]
	v_pk_fma_f32 v[2:3], v[2:3], 0.5, v[58:59] op_sel_hi:[1,0,1] neg_lo:[1,0,0] neg_hi:[1,0,0]
	v_pk_mul_f32 v[0:1], v[0:1], s[2:3] op_sel_hi:[1,0]
	ds_write_b64 v6, v[14:15] offset:48
	v_accvgpr_write_b32 a91, v6
	v_pk_add_f32 v[6:7], v[8:9], v[4:5]
	v_pk_add_f32 v[4:5], v[2:3], v[0:1] op_sel:[0,1] op_sel_hi:[1,0]
	v_pk_add_f32 v[0:1], v[2:3], v[0:1] op_sel:[0,1] op_sel_hi:[1,0] neg_lo:[0,1] neg_hi:[0,1]
	v_mad_legacy_u16 v2, v46, 9, v47
	v_lshlrev_b32_e32 v8, 3, v2
	v_mov_b32_e32 v3, v1
	v_mov_b32_e32 v1, v5
	s_mov_b32 s3, 0xe38f
	ds_write_b64 v8, v[0:1] offset:48
	v_mul_u32_u24_sdwa v0, v226, s3 dst_sel:DWORD dst_unused:UNUSED_PAD src0_sel:WORD_0 src1_sel:DWORD
	v_mul_u32_u24_sdwa v1, v232, s3 dst_sel:DWORD dst_unused:UNUSED_PAD src0_sel:WORD_0 src1_sel:DWORD
	v_lshrrev_b32_e32 v94, 19, v0
	v_lshrrev_b32_e32 v11, 19, v1
	v_mul_lo_u16_e32 v0, 9, v94
	v_mul_lo_u16_e32 v1, 9, v11
	v_mov_b32_e32 v2, v4
	v_sub_u16_e32 v95, v226, v0
	v_sub_u16_e32 v15, v232, v1
	ds_write2_b64 v8, v[6:7], v[2:3] offset1:3
	v_lshlrev_b16_e32 v0, 4, v95
	v_lshlrev_b16_e32 v2, 4, v15
	v_mov_b32_e32 v3, v217
	v_mov_b32_e32 v1, v217
	v_lshl_add_u64 v[2:3], s[10:11], 0, v[2:3]
	v_lshl_add_u64 v[0:1], s[10:11], 0, v[0:1]
	s_waitcnt lgkmcnt(0)
	s_barrier
	global_load_dwordx4 v[48:51], v[2:3], off offset:48
	global_load_dwordx4 v[18:21], v[0:1], off offset:48
	v_mul_u32_u24_sdwa v2, v224, s3 dst_sel:DWORD dst_unused:UNUSED_PAD src0_sel:WORD_0 src1_sel:DWORD
	v_lshrrev_b32_e32 v10, 19, v2
	v_mul_lo_u16_e32 v0, 9, v10
	v_sub_u16_e32 v14, v224, v0
	v_lshlrev_b16_e32 v0, 4, v14
	v_mov_b32_e32 v1, v217
	v_lshl_add_u64 v[0:1], s[10:11], 0, v[0:1]
	v_accvgpr_write_b32 a93, v8
	global_load_dwordx4 v[6:9], v[0:1], off offset:48
	v_mul_u32_u24_sdwa v0, v218, s3 dst_sel:DWORD dst_unused:UNUSED_PAD src0_sel:WORD_0 src1_sel:DWORD
	v_lshrrev_b32_e32 v44, 19, v0
	v_mul_lo_u16_e32 v0, 9, v44
	v_sub_u16_e32 v45, v218, v0
	v_lshlrev_b16_e32 v0, 4, v45
	v_mov_b32_e32 v1, v217
	v_mul_u32_u24_sdwa v2, v134, s3 dst_sel:DWORD dst_unused:UNUSED_PAD src0_sel:WORD_0 src1_sel:DWORD
	v_lshl_add_u64 v[0:1], s[10:11], 0, v[0:1]
	v_lshrrev_b32_e32 v46, 19, v2
	global_load_dwordx4 v[24:27], v[0:1], off offset:48
	v_mul_lo_u16_e32 v0, 9, v46
	v_sub_u16_e32 v47, v134, v0
	v_lshlrev_b16_e32 v0, 4, v47
	v_mov_b32_e32 v1, v217
	v_lshl_add_u64 v[0:1], s[10:11], 0, v[0:1]
	global_load_dwordx4 v[28:31], v[0:1], off offset:48
	ds_read2_b64 v[56:59], v127 offset1:243
	ds_read2_b64 v[64:67], v209 offset0:4 offset1:247
	v_mov_b32_e32 v33, v217
	v_accvgpr_write_b32 a70, v104
	v_accvgpr_write_b32 a71, v105
	;; [unrolled: 1-line block ×4, first 2 shown]
	s_waitcnt vmcnt(4) lgkmcnt(1)
	v_pk_mul_f32 v[2:3], v[58:59], v[48:49] op_sel:[0,1]
	s_nop 0
	v_pk_fma_f32 v[0:1], v[58:59], v[48:49], v[2:3] op_sel:[0,0,1] op_sel_hi:[1,1,0] neg_lo:[0,0,1] neg_hi:[0,0,1]
	v_pk_fma_f32 v[2:3], v[58:59], v[48:49], v[2:3] op_sel:[0,0,1] op_sel_hi:[1,0,0]
	ds_read2_b64 v[58:61], v241 offset0:8 offset1:251
	s_waitcnt vmcnt(3)
	v_mov_b64_e32 v[22:23], v[20:21]
	v_mov_b64_e32 v[20:21], v[18:19]
	v_pk_mul_f32 v[4:5], v[56:57], v[20:21] op_sel:[0,1]
	v_mov_b32_e32 v2, v23
	v_pk_fma_f32 v[72:73], v[56:57], v[20:21], v[4:5] op_sel:[0,0,1] op_sel_hi:[1,1,0] neg_lo:[0,0,1] neg_hi:[0,0,1]
	v_pk_fma_f32 v[74:75], v[56:57], v[20:21], v[4:5] op_sel:[0,0,1] op_sel_hi:[1,0,0]
	s_waitcnt lgkmcnt(0)
	v_pk_mul_f32 v[4:5], v[60:61], v[2:3] op_sel_hi:[1,0]
	s_waitcnt vmcnt(2)
	v_mov_b32_e32 v2, v9
	v_pk_fma_f32 v[18:19], v[60:61], v[22:23], v[4:5] op_sel:[0,0,1] op_sel_hi:[1,1,0] neg_lo:[0,0,1] neg_hi:[0,0,1]
	v_pk_fma_f32 v[76:77], v[60:61], v[22:23], v[4:5] op_sel:[0,0,1] op_sel_hi:[1,0,0]
	ds_read2_b64 v[60:63], v239 offset0:10 offset1:253
	v_pk_mul_f32 v[4:5], v[58:59], v[2:3] op_sel_hi:[1,0]
	v_accvgpr_write_b32 a148, v22
	v_pk_fma_f32 v[78:79], v[58:59], v[8:9], v[4:5] op_sel:[0,0,1] op_sel_hi:[1,1,0] neg_lo:[0,0,1] neg_hi:[0,0,1]
	v_pk_fma_f32 v[82:83], v[58:59], v[8:9], v[4:5] op_sel:[0,0,1] op_sel_hi:[1,0,0]
	ds_read2_b64 v[56:59], v242 offset0:2 offset1:245
	s_waitcnt lgkmcnt(1)
	v_pk_mul_f32 v[4:5], v[62:63], v[6:7] op_sel:[0,1]
	s_waitcnt vmcnt(1)
	v_accvgpr_write_b32 a136, v26
	v_pk_fma_f32 v[80:81], v[62:63], v[6:7], v[4:5] op_sel:[0,0,1] op_sel_hi:[1,1,0] neg_lo:[0,0,1] neg_hi:[0,0,1]
	v_pk_fma_f32 v[84:85], v[62:63], v[6:7], v[4:5] op_sel:[0,0,1] op_sel_hi:[1,0,0]
	v_pk_mul_f32 v[4:5], v[60:61], v[24:25] op_sel:[0,1]
	v_accvgpr_write_b32 a150, v23
	v_accvgpr_write_b32 a147, v21
	;; [unrolled: 1-line block ×3, first 2 shown]
	v_pk_fma_f32 v[88:89], v[60:61], v[24:25], v[4:5] op_sel:[0,0,1] op_sel_hi:[1,1,0] neg_lo:[0,0,1] neg_hi:[0,0,1]
	v_pk_fma_f32 v[90:91], v[60:61], v[24:25], v[4:5] op_sel:[0,0,1] op_sel_hi:[1,0,0]
	v_accvgpr_write_b32 a135, v25
	v_accvgpr_write_b32 a134, v24
	s_waitcnt vmcnt(0)
	v_mov_b64_e32 v[22:23], v[28:29]
	v_mov_b32_e32 v2, v27
	v_mov_b64_e32 v[24:25], v[30:31]
	s_waitcnt lgkmcnt(0)
	v_pk_mul_f32 v[4:5], v[58:59], v[2:3] op_sel_hi:[1,0]
	v_mov_b32_e32 v2, v25
	v_accvgpr_write_b32 a142, v8
	v_pk_fma_f32 v[86:87], v[58:59], v[26:27], v[4:5] op_sel:[0,0,1] op_sel_hi:[1,1,0] neg_lo:[0,0,1] neg_hi:[0,0,1]
	v_pk_fma_f32 v[92:93], v[58:59], v[26:27], v[4:5] op_sel:[0,0,1] op_sel_hi:[1,0,0]
	v_pk_mul_f32 v[4:5], v[56:57], v[2:3] op_sel_hi:[1,0]
	v_accvgpr_write_b32 a141, v7
	v_accvgpr_write_b32 a140, v6
	v_pk_fma_f32 v[6:7], v[56:57], v[24:25], v[4:5] op_sel:[0,0,1] op_sel_hi:[1,1,0] neg_lo:[0,0,1] neg_hi:[0,0,1]
	v_pk_fma_f32 v[4:5], v[56:57], v[24:25], v[4:5] op_sel:[0,0,1] op_sel_hi:[1,0,0]
	v_mul_u32_u24_sdwa v1, v126, s3 dst_sel:DWORD dst_unused:UNUSED_PAD src0_sel:WORD_0 src1_sel:DWORD
	v_lshrrev_b32_e32 v1, 19, v1
	v_mul_u32_u24_sdwa v4, v150, s3 dst_sel:DWORD dst_unused:UNUSED_PAD src0_sel:WORD_0 src1_sel:DWORD
	v_mul_lo_u16_e32 v2, 9, v1
	v_lshrrev_b32_e32 v4, 19, v4
	v_sub_u16_e32 v2, v126, v2
	v_mul_lo_u16_e32 v7, 9, v4
	v_accvgpr_write_b32 a144, v9
	v_lshlrev_b16_e32 v8, 4, v2
	v_mov_b32_e32 v9, v217
	v_pk_mul_f32 v[12:13], v[66:67], v[22:23] op_sel:[0,1]
	v_accvgpr_write_b32 a132, v24
	v_sub_u16_e32 v7, v150, v7
	v_lshl_add_u64 v[8:9], s[10:11], 0, v[8:9]
	v_pk_fma_f32 v[20:21], v[66:67], v[22:23], v[12:13] op_sel:[0,0,1] op_sel_hi:[1,1,0] neg_lo:[0,0,1] neg_hi:[0,0,1]
	v_pk_fma_f32 v[12:13], v[66:67], v[22:23], v[12:13] op_sel:[0,0,1] op_sel_hi:[1,0,0]
	v_accvgpr_write_b32 a131, v23
	v_accvgpr_write_b32 a130, v22
	v_lshlrev_b16_e32 v22, 4, v7
	v_mov_b32_e32 v23, v217
	v_lshl_add_u64 v[22:23], s[10:11], 0, v[22:23]
	global_load_dwordx4 v[28:31], v[8:9], off offset:48
	global_load_dwordx4 v[38:41], v[22:23], off offset:48
	v_accvgpr_write_b32 a152, v25
	v_mov_b32_e32 v19, 57
	v_mul_lo_u16_sdwa v19, v174, v19 dst_sel:DWORD dst_unused:UNUSED_PAD src0_sel:BYTE_0 src1_sel:DWORD
	v_lshrrev_b16_e32 v19, 9, v19
	v_mul_lo_u16_e32 v21, 9, v19
	v_sub_u16_e32 v21, v174, v21
	v_and_b32_e32 v21, 0xff, v21
	ds_read2_b64 v[96:99], v246 offset0:6 offset1:249
	v_accvgpr_write_b32 a138, v27
	v_mul_u32_u24_e32 v19, 27, v19
	v_add_lshl_u32 v19, v19, v21, 3
	v_mad_legacy_u16 v4, v4, 27, v7
	v_lshlrev_b32_e32 v4, 3, v4
	v_mov_b32_e32 v7, v5
	v_accvgpr_write_b32 a103, v4
	v_mad_legacy_u16 v1, v1, 27, v2
	v_lshlrev_b32_e32 v1, 3, v1
	v_accvgpr_write_b32 a105, v1
	v_mov_b32_e32 v89, v91
	v_mov_b32_e32 v87, v93
	;; [unrolled: 1-line block ×4, first 2 shown]
	v_accvgpr_write_b32 a97, v19
	v_mov_b32_e32 v73, v75
	v_accvgpr_write_b32 a126, v50
	v_accvgpr_write_b32 a125, v49
	v_accvgpr_write_b32 a124, v48
	v_accvgpr_write_b32 a188, v51
	s_waitcnt vmcnt(1)
	v_pk_mul_f32 v[8:9], v[64:65], v[28:29] op_sel:[0,1]
	s_nop 0
	v_pk_fma_f32 v[22:23], v[64:65], v[28:29], v[8:9] op_sel:[0,0,1] op_sel_hi:[1,1,0] neg_lo:[0,0,1] neg_hi:[0,0,1]
	v_pk_fma_f32 v[8:9], v[64:65], v[28:29], v[8:9] op_sel:[0,0,1] op_sel_hi:[1,0,0]
	ds_read2_b64 v[64:67], v240 offset0:12 offset1:255
	v_mov_b32_e32 v8, v31
	v_accvgpr_write_b32 a160, v30
	v_accvgpr_write_b32 a159, v29
	;; [unrolled: 1-line block ×3, first 2 shown]
	s_waitcnt lgkmcnt(0)
	v_pk_mul_f32 v[24:25], v[66:67], v[8:9] op_sel_hi:[1,0]
	s_waitcnt vmcnt(0)
	v_mov_b32_e32 v8, v41
	v_pk_mul_f32 v[28:29], v[64:65], v[8:9] op_sel_hi:[1,0]
	v_mul_u32_u24_sdwa v8, v148, s3 dst_sel:DWORD dst_unused:UNUSED_PAD src0_sel:WORD_0 src1_sel:DWORD
	v_lshrrev_b32_e32 v8, 19, v8
	v_mul_lo_u16_e32 v12, 9, v8
	v_sub_u16_e32 v12, v148, v12
	v_lshlrev_b16_e32 v32, 4, v12
	v_lshl_add_u64 v[32:33], s[10:11], 0, v[32:33]
	v_lshlrev_b32_e32 v23, 4, v21
	global_load_dwordx4 v[56:59], v[32:33], off offset:48
	global_load_dwordx4 v[52:55], v23, s[10:11] offset:48
	v_pk_mul_f32 v[34:35], v[98:99], v[38:39] op_sel:[0,1]
	v_accvgpr_write_b32 a156, v40
	v_pk_fma_f32 v[36:37], v[98:99], v[38:39], v[34:35] op_sel:[0,0,1] op_sel_hi:[1,1,0] neg_lo:[0,0,1] neg_hi:[0,0,1]
	v_pk_fma_f32 v[34:35], v[98:99], v[38:39], v[34:35] op_sel:[0,0,1] op_sel_hi:[1,0,0]
	v_accvgpr_write_b32 a155, v39
	v_accvgpr_write_b32 a154, v38
	v_pk_fma_f32 v[26:27], v[66:67], v[30:31], v[24:25] op_sel:[0,0,1] op_sel_hi:[1,1,0] neg_lo:[0,0,1] neg_hi:[0,0,1]
	v_pk_fma_f32 v[24:25], v[66:67], v[30:31], v[24:25] op_sel:[0,0,1] op_sel_hi:[1,0,0]
	v_accvgpr_write_b32 a162, v31
	v_accvgpr_write_b32 a166, v41
	v_pk_fma_f32 v[30:31], v[64:65], v[40:41], v[28:29] op_sel:[0,0,1] op_sel_hi:[1,1,0] neg_lo:[0,0,1] neg_hi:[0,0,1]
	v_pk_fma_f32 v[28:29], v[64:65], v[40:41], v[28:29] op_sel:[0,0,1] op_sel_hi:[1,0,0]
	v_mov_b32_e32 v37, v35
	v_mov_b32_e32 v31, v29
	v_mad_legacy_u16 v8, v8, 27, v12
	v_pk_add_f32 v[28:29], v[36:37], v[30:31]
	v_pk_add_f32 v[34:35], v[36:37], v[30:31] neg_lo:[0,1] neg_hi:[0,1]
	v_lshlrev_b32_e32 v8, 3, v8
	v_pk_mul_f32 v[34:35], v[34:35], s[2:3] op_sel_hi:[1,0]
	v_mov_b32_e32 v23, v9
	v_mov_b32_e32 v27, v25
	v_accvgpr_write_b32 a99, v8
	v_mov_b32_e32 v21, v13
	v_pk_add_f32 v[12:13], v[20:21], v[6:7] neg_lo:[0,1] neg_hi:[0,1]
	s_waitcnt vmcnt(1)
	v_pk_mul_f32 v[32:33], v[96:97], v[56:57] op_sel:[0,1]
	s_nop 0
	v_pk_fma_f32 v[38:39], v[96:97], v[56:57], v[32:33] op_sel:[0,0,1] op_sel_hi:[1,1,0] neg_lo:[0,0,1] neg_hi:[0,0,1]
	v_pk_fma_f32 v[32:33], v[96:97], v[56:57], v[32:33] op_sel:[0,0,1] op_sel_hi:[1,0,0]
	ds_read2_b64 v[96:99], v199 offset0:6 offset1:249
	v_mov_b32_e32 v24, v59
	v_mov_b32_e32 v39, v33
	v_pk_mul_f32 v[12:13], v[12:13], s[2:3] op_sel_hi:[1,0]
	s_waitcnt vmcnt(0)
	v_accvgpr_write_b32 a170, v54
	s_waitcnt lgkmcnt(0)
	v_pk_mul_f32 v[40:41], v[98:99], v[24:25] op_sel_hi:[1,0]
	v_mov_b32_e32 v24, v55
	v_pk_fma_f32 v[42:43], v[98:99], v[58:59], v[40:41] op_sel:[0,0,1] op_sel_hi:[1,1,0] neg_lo:[0,0,1] neg_hi:[0,0,1]
	v_pk_fma_f32 v[40:41], v[98:99], v[58:59], v[40:41] op_sel:[0,0,1] op_sel_hi:[1,0,0]
	v_pk_mul_f32 v[98:99], v[96:97], v[24:25] op_sel_hi:[1,0]
	v_mov_b32_e32 v43, v41
	v_pk_fma_f32 v[102:103], v[96:97], v[54:55], v[98:99] op_sel:[0,0,1] op_sel_hi:[1,1,0] neg_lo:[0,0,1] neg_hi:[0,0,1]
	v_pk_fma_f32 v[100:101], v[96:97], v[54:55], v[98:99] op_sel:[0,0,1] op_sel_hi:[1,0,0]
	ds_read2_b64 v[96:99], v238 offset0:8 offset1:251
	v_mov_b32_e32 v103, v101
	v_pk_add_f32 v[32:33], v[38:39], v[42:43]
	v_accvgpr_write_b32 a169, v53
	v_accvgpr_write_b32 a168, v52
	s_waitcnt lgkmcnt(0)
	v_pk_mul_f32 v[104:105], v[98:99], v[52:53] op_sel:[0,1]
	v_mov_b32_e32 v54, v241
	v_pk_fma_f32 v[106:107], v[98:99], v[52:53], v[104:105] op_sel:[0,0,1] op_sel_hi:[1,1,0] neg_lo:[0,0,1] neg_hi:[0,0,1]
	v_pk_fma_f32 v[98:99], v[98:99], v[52:53], v[104:105] op_sel:[0,0,1] op_sel_hi:[1,0,0]
	v_mov_b32_e32 v52, v174
	v_mov_b32_e32 v107, v99
	ds_read2_b64 v[98:101], v216 offset1:243
	v_accvgpr_write_b32 a174, v58
	v_accvgpr_write_b32 a176, v59
	;; [unrolled: 1-line block ×4, first 2 shown]
	s_waitcnt lgkmcnt(0)
	v_pk_add_f32 v[104:105], v[98:99], v[106:107]
	v_pk_add_f32 v[40:41], v[100:101], v[38:39]
	;; [unrolled: 1-line block ×4, first 2 shown]
	v_pk_add_f32 v[102:103], v[106:107], v[102:103] neg_lo:[0,1] neg_hi:[0,1]
	v_pk_fma_f32 v[98:99], v[104:105], 0.5, v[98:99] op_sel_hi:[1,0,1] neg_lo:[1,0,0] neg_hi:[1,0,0]
	v_pk_mul_f32 v[102:103], v[102:103], s[2:3] op_sel_hi:[1,0]
	v_pk_add_f32 v[38:39], v[38:39], v[42:43] neg_lo:[0,1] neg_hi:[0,1]
	v_pk_add_f32 v[116:117], v[98:99], v[102:103] op_sel:[0,1] op_sel_hi:[1,0]
	v_pk_add_f32 v[98:99], v[98:99], v[102:103] op_sel:[0,1] op_sel_hi:[1,0] neg_lo:[0,1] neg_hi:[0,1]
	ds_read_b64 v[118:119], v216 offset:50544
	ds_read2_b64 v[102:105], v198 offset0:2 offset1:245
	ds_read2_b64 v[106:109], v149 offset0:12 offset1:255
	;; [unrolled: 1-line block ×3, first 2 shown]
	v_pk_fma_f32 v[32:33], v[32:33], 0.5, v[100:101] op_sel_hi:[1,0,1] neg_lo:[1,0,0] neg_hi:[1,0,0]
	v_pk_mul_f32 v[38:39], v[38:39], s[2:3] op_sel_hi:[1,0]
	v_mov_b32_e32 v120, v116
	v_pk_add_f32 v[100:101], v[32:33], v[38:39] op_sel:[0,1] op_sel_hi:[1,0] neg_lo:[0,1] neg_hi:[0,1]
	v_pk_add_f32 v[32:33], v[32:33], v[38:39] op_sel:[0,1] op_sel_hi:[1,0]
	v_mov_b32_e32 v121, v99
	v_mov_b32_e32 v99, v117
	v_pk_add_f32 v[38:39], v[40:41], v[42:43]
	v_mov_b32_e32 v40, v32
	v_mov_b32_e32 v41, v101
	s_waitcnt lgkmcnt(0)
	v_pk_fma_f32 v[28:29], v[28:29], 0.5, v[110:111] op_sel_hi:[1,0,1] neg_lo:[1,0,0] neg_hi:[1,0,0]
	v_mov_b32_e32 v101, v33
	s_barrier
	ds_write2_b64 v19, v[114:115], v[120:121] offset1:9
	ds_write_b64 v19, v[98:99] offset:144
	ds_write2_b64 v8, v[38:39], v[40:41] offset1:9
	v_pk_add_f32 v[38:39], v[28:29], v[34:35] op_sel:[0,1] op_sel_hi:[1,0] neg_lo:[0,1] neg_hi:[0,1]
	v_pk_add_f32 v[28:29], v[28:29], v[34:35] op_sel:[0,1] op_sel_hi:[1,0]
	ds_write_b64 v8, v[100:101] offset:144
	v_pk_add_f32 v[32:33], v[110:111], v[36:37]
	v_pk_add_f32 v[8:9], v[22:23], v[26:27]
	v_pk_add_f32 v[24:25], v[112:113], v[22:23]
	v_pk_add_f32 v[22:23], v[22:23], v[26:27] neg_lo:[0,1] neg_hi:[0,1]
	v_pk_add_f32 v[30:31], v[32:33], v[30:31]
	v_mov_b32_e32 v32, v28
	v_mov_b32_e32 v33, v39
	v_pk_fma_f32 v[8:9], v[8:9], 0.5, v[112:113] op_sel_hi:[1,0,1] neg_lo:[1,0,0] neg_hi:[1,0,0]
	v_pk_mul_f32 v[22:23], v[22:23], s[2:3] op_sel_hi:[1,0]
	v_mov_b32_e32 v39, v29
	ds_write2_b64 v4, v[30:31], v[32:33] offset1:9
	v_pk_add_f32 v[30:31], v[8:9], v[22:23] op_sel:[0,1] op_sel_hi:[1,0] neg_lo:[0,1] neg_hi:[0,1]
	v_pk_add_f32 v[8:9], v[8:9], v[22:23] op_sel:[0,1] op_sel_hi:[1,0]
	ds_write_b64 v4, v[38:39] offset:144
	v_pk_add_f32 v[4:5], v[20:21], v[6:7]
	v_pk_add_f32 v[22:23], v[24:25], v[26:27]
	v_mov_b32_e32 v24, v8
	v_mov_b32_e32 v25, v31
	v_pk_fma_f32 v[4:5], v[4:5], 0.5, v[106:107] op_sel_hi:[1,0,1] neg_lo:[1,0,0] neg_hi:[1,0,0]
	v_mov_b32_e32 v31, v9
	ds_write2_b64 v1, v[22:23], v[24:25] offset1:9
	v_pk_add_f32 v[22:23], v[4:5], v[12:13] op_sel:[0,1] op_sel_hi:[1,0] neg_lo:[0,1] neg_hi:[0,1]
	v_pk_add_f32 v[4:5], v[4:5], v[12:13] op_sel:[0,1] op_sel_hi:[1,0]
	ds_write_b64 v1, v[30:31] offset:144
	v_pk_add_f32 v[8:9], v[106:107], v[20:21]
	v_mad_legacy_u16 v1, v46, 27, v47
	v_pk_add_f32 v[6:7], v[8:9], v[6:7]
	v_lshlrev_b32_e32 v1, 3, v1
	v_mov_b32_e32 v8, v4
	v_mov_b32_e32 v9, v23
	ds_write2_b64 v1, v[6:7], v[8:9] offset1:9
	v_pk_add_f32 v[6:7], v[88:89], v[86:87]
	v_pk_add_f32 v[12:13], v[88:89], v[86:87] neg_lo:[0,1] neg_hi:[0,1]
	v_pk_fma_f32 v[6:7], v[6:7], 0.5, v[108:109] op_sel_hi:[1,0,1] neg_lo:[1,0,0] neg_hi:[1,0,0]
	v_pk_mul_f32 v[12:13], v[12:13], s[2:3] op_sel_hi:[1,0]
	v_mov_b32_e32 v23, v5
	v_pk_add_f32 v[8:9], v[108:109], v[88:89]
	v_pk_add_f32 v[20:21], v[6:7], v[12:13] op_sel:[0,1] op_sel_hi:[1,0] neg_lo:[0,1] neg_hi:[0,1]
	v_pk_add_f32 v[6:7], v[6:7], v[12:13] op_sel:[0,1] op_sel_hi:[1,0]
	ds_write_b64 v1, v[22:23] offset:144
	v_accvgpr_write_b32 a109, v1
	v_mad_legacy_u16 v1, v44, 27, v45
	v_pk_add_f32 v[4:5], v[8:9], v[86:87]
	v_lshlrev_b32_e32 v1, 3, v1
	v_mov_b32_e32 v8, v6
	v_mov_b32_e32 v9, v21
	ds_write2_b64 v1, v[4:5], v[8:9] offset1:9
	v_pk_add_f32 v[4:5], v[80:81], v[78:79]
	v_pk_add_f32 v[8:9], v[80:81], v[78:79] neg_lo:[0,1] neg_hi:[0,1]
	v_pk_fma_f32 v[4:5], v[4:5], 0.5, v[102:103] op_sel_hi:[1,0,1] neg_lo:[1,0,0] neg_hi:[1,0,0]
	v_pk_mul_f32 v[8:9], v[8:9], s[2:3] op_sel_hi:[1,0]
	v_mov_b32_e32 v21, v7
	v_pk_add_f32 v[12:13], v[4:5], v[8:9] op_sel:[0,1] op_sel_hi:[1,0] neg_lo:[0,1] neg_hi:[0,1]
	v_pk_add_f32 v[4:5], v[4:5], v[8:9] op_sel:[0,1] op_sel_hi:[1,0]
	ds_write_b64 v1, v[20:21] offset:144
	v_accvgpr_write_b32 a111, v1
	v_pk_add_f32 v[6:7], v[102:103], v[80:81]
	v_mad_legacy_u16 v1, v10, 27, v14
	v_pk_add_f32 v[6:7], v[6:7], v[78:79]
	v_lshlrev_b32_e32 v1, 3, v1
	v_mov_b32_e32 v8, v4
	v_mov_b32_e32 v9, v13
	;; [unrolled: 1-line block ×3, first 2 shown]
	ds_write2_b64 v1, v[6:7], v[8:9] offset1:9
	v_pk_add_f32 v[6:7], v[72:73], v[18:19]
	v_pk_add_f32 v[20:21], v[72:73], v[18:19] neg_lo:[0,1] neg_hi:[0,1]
	v_pk_fma_f32 v[6:7], v[6:7], 0.5, v[104:105] op_sel_hi:[1,0,1] neg_lo:[1,0,0] neg_hi:[1,0,0]
	v_pk_mul_f32 v[20:21], v[20:21], s[2:3] op_sel_hi:[1,0]
	v_mov_b32_e32 v13, v5
	v_pk_add_f32 v[8:9], v[104:105], v[72:73]
	v_pk_add_f32 v[22:23], v[6:7], v[20:21] op_sel:[0,1] op_sel_hi:[1,0] neg_lo:[0,1] neg_hi:[0,1]
	v_pk_add_f32 v[6:7], v[6:7], v[20:21] op_sel:[0,1] op_sel_hi:[1,0]
	ds_write_b64 v1, v[12:13] offset:144
	v_accvgpr_write_b32 a115, v1
	v_mad_legacy_u16 v1, v94, 27, v95
	v_pk_add_f32 v[4:5], v[8:9], v[18:19]
	v_lshlrev_b32_e32 v1, 3, v1
	v_mov_b32_e32 v8, v6
	v_mov_b32_e32 v9, v23
	ds_write2_b64 v1, v[4:5], v[8:9] offset1:9
	v_mov_b32_e32 v4, v51
	v_mov_b32_e32 v6, v1
	;; [unrolled: 1-line block ×3, first 2 shown]
	v_pk_mul_f32 v[2:3], v[118:119], v[4:5] op_sel_hi:[1,0]
	v_pk_add_f32 v[8:9], v[96:97], v[0:1]
	v_pk_fma_f32 v[4:5], v[118:119], v[50:51], v[2:3] op_sel:[0,0,1] op_sel_hi:[1,1,0] neg_lo:[0,0,1] neg_hi:[0,0,1]
	v_pk_fma_f32 v[2:3], v[118:119], v[50:51], v[2:3] op_sel:[0,0,1] op_sel_hi:[1,0,0]
	v_mov_b32_e32 v23, v7
	v_mov_b32_e32 v5, v3
	v_pk_add_f32 v[2:3], v[0:1], v[4:5]
	v_pk_add_f32 v[0:1], v[0:1], v[4:5] neg_lo:[0,1] neg_hi:[0,1]
	v_pk_fma_f32 v[2:3], v[2:3], 0.5, v[96:97] op_sel_hi:[1,0,1] neg_lo:[1,0,0] neg_hi:[1,0,0]
	v_pk_mul_f32 v[0:1], v[0:1], s[2:3] op_sel_hi:[1,0]
	s_movk_i32 s3, 0x2f69
	v_pk_add_f32 v[12:13], v[2:3], v[0:1] op_sel:[0,1] op_sel_hi:[1,0] neg_lo:[0,1] neg_hi:[0,1]
	v_pk_add_f32 v[0:1], v[2:3], v[0:1] op_sel:[0,1] op_sel_hi:[1,0]
	v_pk_add_f32 v[2:3], v[8:9], v[4:5]
	v_mad_legacy_u16 v4, v11, 27, v15
	v_lshlrev_b32_e32 v219, 3, v4
	v_mov_b32_e32 v4, v0
	v_mul_u32_u24_sdwa v0, v232, s3 dst_sel:DWORD dst_unused:UNUSED_PAD src0_sel:WORD_0 src1_sel:DWORD
	v_mov_b32_e32 v5, v13
	v_mov_b32_e32 v13, v1
	v_sub_u16_sdwa v1, v232, v0 dst_sel:DWORD dst_unused:UNUSED_PAD src0_sel:DWORD src1_sel:WORD_1
	v_lshrrev_b16_e32 v1, 1, v1
	v_add_u16_sdwa v0, v1, v0 dst_sel:DWORD dst_unused:UNUSED_PAD src0_sel:DWORD src1_sel:WORD_1
	v_lshrrev_b16_e32 v11, 4, v0
	v_mul_lo_u16_e32 v0, 27, v11
	v_sub_u16_e32 v15, v232, v0
	v_lshlrev_b16_e32 v0, 4, v15
	v_mov_b32_e32 v1, v217
	v_lshl_add_u64 v[0:1], s[10:11], 0, v[0:1]
	ds_write_b64 v6, v[22:23] offset:144
	ds_write2_b64 v219, v[2:3], v[4:5] offset1:9
	ds_write_b64 v219, v[12:13] offset:144
	s_waitcnt lgkmcnt(0)
	s_barrier
	global_load_dwordx4 v[72:75], v[0:1], off offset:192
	v_mul_u32_u24_sdwa v0, v226, s3 dst_sel:DWORD dst_unused:UNUSED_PAD src0_sel:WORD_0 src1_sel:DWORD
	v_sub_u16_sdwa v1, v226, v0 dst_sel:DWORD dst_unused:UNUSED_PAD src0_sel:DWORD src1_sel:WORD_1
	v_lshrrev_b16_e32 v1, 1, v1
	v_add_u16_sdwa v0, v1, v0 dst_sel:DWORD dst_unused:UNUSED_PAD src0_sel:DWORD src1_sel:WORD_1
	v_lshrrev_b16_e32 v10, 4, v0
	v_mul_lo_u16_e32 v0, 27, v10
	ds_read2_b64 v[84:87], v127 offset1:243
	v_sub_u16_e32 v14, v226, v0
	v_lshlrev_b16_e32 v0, 4, v14
	v_mov_b32_e32 v1, v217
	v_lshl_add_u64 v[4:5], s[10:11], 0, v[0:1]
	v_mul_u32_u24_sdwa v0, v224, s3 dst_sel:DWORD dst_unused:UNUSED_PAD src0_sel:WORD_0 src1_sel:DWORD
	v_sub_u16_sdwa v1, v224, v0 dst_sel:DWORD dst_unused:UNUSED_PAD src0_sel:DWORD src1_sel:WORD_1
	v_lshrrev_b16_e32 v1, 1, v1
	v_accvgpr_write_b32 a117, v6
	v_add_u16_sdwa v6, v1, v0 dst_sel:DWORD dst_unused:UNUSED_PAD src0_sel:DWORD src1_sel:WORD_1
	v_mov_b32_e32 v7, v217
	v_mov_b32_e32 v13, v217
	;; [unrolled: 1-line block ×3, first 2 shown]
	v_accvgpr_write_b32 a74, v52
	v_accvgpr_write_b32 a178, v55
	s_waitcnt vmcnt(0) lgkmcnt(0)
	v_pk_mul_f32 v[2:3], v[86:87], v[72:73] op_sel:[0,1]
	s_nop 0
	v_pk_fma_f32 v[0:1], v[86:87], v[72:73], v[2:3] op_sel:[0,0,1] op_sel_hi:[1,1,0] neg_lo:[0,0,1] neg_hi:[0,0,1]
	v_pk_fma_f32 v[2:3], v[86:87], v[72:73], v[2:3] op_sel:[0,0,1] op_sel_hi:[1,0,0]
	v_lshrrev_b16_e32 v1, 4, v6
	v_mul_lo_u16_e32 v2, 27, v1
	v_sub_u16_e32 v2, v224, v2
	v_lshlrev_b16_e32 v6, 4, v2
	v_lshl_add_u64 v[6:7], s[10:11], 0, v[6:7]
	global_load_dwordx4 v[80:83], v[4:5], off offset:192
	global_load_dwordx4 v[76:79], v[6:7], off offset:192
	ds_read2_b64 v[92:95], v239 offset0:10 offset1:253
	v_accvgpr_write_b32 a216, v75
	s_waitcnt vmcnt(1)
	v_pk_mul_f32 v[4:5], v[84:85], v[80:81] op_sel:[0,1]
	s_nop 0
	v_pk_fma_f32 v[108:109], v[84:85], v[80:81], v[4:5] op_sel:[0,0,1] op_sel_hi:[1,1,0] neg_lo:[0,0,1] neg_hi:[0,0,1]
	v_pk_fma_f32 v[110:111], v[84:85], v[80:81], v[4:5] op_sel:[0,0,1] op_sel_hi:[1,0,0]
	ds_read2_b64 v[84:87], v241 offset0:8 offset1:251
	v_mov_b32_e32 v6, v83
	s_waitcnt vmcnt(0)
	v_accvgpr_write_b32 a182, v79
	v_mov_b32_e32 v109, v111
	v_accvgpr_write_b32 a180, v83
	s_waitcnt lgkmcnt(0)
	v_pk_mul_f32 v[4:5], v[86:87], v[6:7] op_sel_hi:[1,0]
	v_mov_b32_e32 v6, v79
	v_pk_fma_f32 v[18:19], v[86:87], v[82:83], v[4:5] op_sel:[0,0,1] op_sel_hi:[1,1,0] neg_lo:[0,0,1] neg_hi:[0,0,1]
	v_pk_fma_f32 v[112:113], v[86:87], v[82:83], v[4:5] op_sel:[0,0,1] op_sel_hi:[1,0,0]
	v_pk_mul_f32 v[4:5], v[84:85], v[6:7] op_sel_hi:[1,0]
	s_nop 0
	v_pk_fma_f32 v[114:115], v[84:85], v[78:79], v[4:5] op_sel:[0,0,1] op_sel_hi:[1,1,0] neg_lo:[0,0,1] neg_hi:[0,0,1]
	v_pk_fma_f32 v[116:117], v[84:85], v[78:79], v[4:5] op_sel:[0,0,1] op_sel_hi:[1,0,0]
	v_mul_u32_u24_sdwa v4, v218, s3 dst_sel:DWORD dst_unused:UNUSED_PAD src0_sel:WORD_0 src1_sel:DWORD
	v_sub_u16_sdwa v5, v218, v4 dst_sel:DWORD dst_unused:UNUSED_PAD src0_sel:DWORD src1_sel:WORD_1
	v_lshrrev_b16_e32 v5, 1, v5
	v_add_u16_sdwa v4, v5, v4 dst_sel:DWORD dst_unused:UNUSED_PAD src0_sel:DWORD src1_sel:WORD_1
	v_mul_u32_u24_sdwa v5, v134, s3 dst_sel:DWORD dst_unused:UNUSED_PAD src0_sel:WORD_0 src1_sel:DWORD
	v_sub_u16_sdwa v6, v134, v5 dst_sel:DWORD dst_unused:UNUSED_PAD src0_sel:DWORD src1_sel:WORD_1
	v_lshrrev_b16_e32 v6, 1, v6
	v_add_u16_sdwa v8, v6, v5 dst_sel:DWORD dst_unused:UNUSED_PAD src0_sel:DWORD src1_sel:WORD_1
	v_lshrrev_b16_e32 v19, 4, v4
	v_mul_lo_u16_e32 v4, 27, v19
	v_pk_mul_f32 v[6:7], v[94:95], v[76:77] op_sel:[0,1]
	v_lshrrev_b16_e32 v47, 4, v8
	v_sub_u16_e32 v46, v218, v4
	v_pk_fma_f32 v[118:119], v[94:95], v[76:77], v[6:7] op_sel:[0,0,1] op_sel_hi:[1,1,0] neg_lo:[0,0,1] neg_hi:[0,0,1]
	v_pk_fma_f32 v[120:121], v[94:95], v[76:77], v[6:7] op_sel:[0,0,1] op_sel_hi:[1,0,0]
	v_mul_lo_u16_e32 v6, 27, v47
	v_lshlrev_b16_e32 v4, 4, v46
	v_mov_b32_e32 v5, v217
	v_sub_u16_e32 v48, v134, v6
	v_lshl_add_u64 v[4:5], s[10:11], 0, v[4:5]
	v_lshlrev_b16_e32 v6, 4, v48
	v_mov_b32_e32 v7, v217
	v_lshl_add_u64 v[6:7], s[10:11], 0, v[6:7]
	global_load_dwordx4 v[88:91], v[4:5], off offset:192
	global_load_dwordx4 v[84:87], v[6:7], off offset:192
	ds_read2_b64 v[100:103], v209 offset0:4 offset1:247
	v_mov_b32_e32 v119, v121
	v_mov_b32_e32 v115, v117
	s_waitcnt vmcnt(1)
	v_pk_mul_f32 v[4:5], v[92:93], v[88:89] op_sel:[0,1]
	s_nop 0
	v_pk_fma_f32 v[124:125], v[92:93], v[88:89], v[4:5] op_sel:[0,0,1] op_sel_hi:[1,1,0] neg_lo:[0,0,1] neg_hi:[0,0,1]
	v_pk_fma_f32 v[44:45], v[92:93], v[88:89], v[4:5] op_sel:[0,0,1] op_sel_hi:[1,0,0]
	ds_read2_b64 v[92:95], v242 offset0:2 offset1:245
	v_mov_b32_e32 v6, v91
	s_waitcnt vmcnt(0)
	v_accvgpr_write_b32 a186, v87
	v_accvgpr_write_b32 a184, v91
	v_mov_b32_e32 v125, v45
	s_waitcnt lgkmcnt(0)
	v_pk_mul_f32 v[4:5], v[94:95], v[6:7] op_sel_hi:[1,0]
	v_mov_b32_e32 v6, v87
	v_pk_fma_f32 v[122:123], v[94:95], v[90:91], v[4:5] op_sel:[0,0,1] op_sel_hi:[1,1,0] neg_lo:[0,0,1] neg_hi:[0,0,1]
	v_pk_fma_f32 v[128:129], v[94:95], v[90:91], v[4:5] op_sel:[0,0,1] op_sel_hi:[1,0,0]
	v_pk_mul_f32 v[4:5], v[92:93], v[6:7] op_sel_hi:[1,0]
	v_mov_b32_e32 v123, v129
	v_pk_fma_f32 v[130:131], v[92:93], v[86:87], v[4:5] op_sel:[0,0,1] op_sel_hi:[1,1,0] neg_lo:[0,0,1] neg_hi:[0,0,1]
	v_pk_fma_f32 v[132:133], v[92:93], v[86:87], v[4:5] op_sel:[0,0,1] op_sel_hi:[1,0,0]
	v_mul_u32_u24_sdwa v4, v126, s3 dst_sel:DWORD dst_unused:UNUSED_PAD src0_sel:WORD_0 src1_sel:DWORD
	v_sub_u16_sdwa v5, v126, v4 dst_sel:DWORD dst_unused:UNUSED_PAD src0_sel:DWORD src1_sel:WORD_1
	v_lshrrev_b16_e32 v5, 1, v5
	v_add_u16_sdwa v4, v5, v4 dst_sel:DWORD dst_unused:UNUSED_PAD src0_sel:DWORD src1_sel:WORD_1
	v_mul_u32_u24_sdwa v5, v150, s3 dst_sel:DWORD dst_unused:UNUSED_PAD src0_sel:WORD_0 src1_sel:DWORD
	v_sub_u16_sdwa v6, v150, v5 dst_sel:DWORD dst_unused:UNUSED_PAD src0_sel:DWORD src1_sel:WORD_1
	v_lshrrev_b16_e32 v6, 1, v6
	v_add_u16_sdwa v12, v6, v5 dst_sel:DWORD dst_unused:UNUSED_PAD src0_sel:DWORD src1_sel:WORD_1
	v_pk_mul_f32 v[6:7], v[102:103], v[84:85] op_sel:[0,1]
	v_lshrrev_b16_e32 v44, 4, v4
	v_pk_fma_f32 v[8:9], v[102:103], v[84:85], v[6:7] op_sel:[0,0,1] op_sel_hi:[1,1,0] neg_lo:[0,0,1] neg_hi:[0,0,1]
	v_pk_fma_f32 v[6:7], v[102:103], v[84:85], v[6:7] op_sel:[0,0,1] op_sel_hi:[1,0,0]
	v_mul_lo_u16_e32 v4, 27, v44
	v_lshrrev_b16_e32 v6, 4, v12
	v_sub_u16_e32 v49, v126, v4
	v_mul_lo_u16_e32 v9, 27, v6
	v_lshlrev_b16_e32 v4, 4, v49
	v_mov_b32_e32 v5, v217
	v_sub_u16_e32 v9, v150, v9
	v_lshl_add_u64 v[4:5], s[10:11], 0, v[4:5]
	v_lshlrev_b16_e32 v12, 4, v9
	v_lshl_add_u64 v[12:13], s[10:11], 0, v[12:13]
	global_load_dwordx4 v[96:99], v[4:5], off offset:192
	global_load_dwordx4 v[92:95], v[12:13], off offset:192
	ds_read2_b64 v[136:139], v246 offset0:6 offset1:249
	v_mov_b32_e32 v131, v133
	s_waitcnt vmcnt(1)
	v_pk_mul_f32 v[4:5], v[100:101], v[96:97] op_sel:[0,1]
	s_nop 0
	v_pk_fma_f32 v[12:13], v[100:101], v[96:97], v[4:5] op_sel:[0,0,1] op_sel_hi:[1,1,0] neg_lo:[0,0,1] neg_hi:[0,0,1]
	v_pk_fma_f32 v[4:5], v[100:101], v[96:97], v[4:5] op_sel:[0,0,1] op_sel_hi:[1,0,0]
	ds_read2_b64 v[100:103], v240 offset0:12 offset1:255
	v_mov_b32_e32 v4, v99
	s_waitcnt vmcnt(0) lgkmcnt(1)
	v_pk_mul_f32 v[30:31], v[138:139], v[92:93] op_sel:[0,1]
	v_accvgpr_write_b32 a192, v95
	v_pk_fma_f32 v[32:33], v[138:139], v[92:93], v[30:31] op_sel:[0,0,1] op_sel_hi:[1,1,0] neg_lo:[0,0,1] neg_hi:[0,0,1]
	s_waitcnt lgkmcnt(0)
	v_pk_mul_f32 v[20:21], v[102:103], v[4:5] op_sel_hi:[1,0]
	v_mov_b32_e32 v4, v95
	v_pk_mul_f32 v[24:25], v[100:101], v[4:5] op_sel_hi:[1,0]
	v_mul_u32_u24_sdwa v4, v148, s3 dst_sel:DWORD dst_unused:UNUSED_PAD src0_sel:WORD_0 src1_sel:DWORD
	v_sub_u16_sdwa v13, v148, v4 dst_sel:DWORD dst_unused:UNUSED_PAD src0_sel:DWORD src1_sel:WORD_1
	v_pk_fma_f32 v[22:23], v[102:103], v[98:99], v[20:21] op_sel:[0,0,1] op_sel_hi:[1,1,0] neg_lo:[0,0,1] neg_hi:[0,0,1]
	v_pk_fma_f32 v[20:21], v[102:103], v[98:99], v[20:21] op_sel:[0,0,1] op_sel_hi:[1,0,0]
	v_lshrrev_b16_e32 v13, 1, v13
	v_add_u16_sdwa v4, v13, v4 dst_sel:DWORD dst_unused:UNUSED_PAD src0_sel:DWORD src1_sel:WORD_1
	v_mov_b32_e32 v20, 19
	v_lshrrev_b16_e32 v4, 4, v4
	v_mul_lo_u16_sdwa v20, v174, v20 dst_sel:DWORD dst_unused:UNUSED_PAD src0_sel:BYTE_0 src1_sel:DWORD
	v_mul_lo_u16_e32 v13, 27, v4
	v_lshrrev_b16_e32 v20, 9, v20
	v_sub_u16_e32 v13, v148, v13
	v_mul_lo_u16_e32 v23, 27, v20
	v_lshlrev_b16_e32 v28, 4, v13
	v_sub_u16_e32 v23, v174, v23
	v_pk_fma_f32 v[26:27], v[100:101], v[94:95], v[24:25] op_sel:[0,0,1] op_sel_hi:[1,1,0] neg_lo:[0,0,1] neg_hi:[0,0,1]
	v_pk_fma_f32 v[24:25], v[100:101], v[94:95], v[24:25] op_sel:[0,0,1] op_sel_hi:[1,0,0]
	v_lshl_add_u64 v[28:29], s[10:11], 0, v[28:29]
	v_and_b32_e32 v23, 0xff, v23
	v_lshlrev_b32_e32 v24, 4, v23
	global_load_dwordx4 v[104:107], v[28:29], off offset:192
	global_load_dwordx4 v[100:103], v24, s[10:11] offset:192
	v_pk_fma_f32 v[30:31], v[138:139], v[92:93], v[30:31] op_sel:[0,0,1] op_sel_hi:[1,0,0]
	v_mul_u32_u24_e32 v20, 0x51, v20
	v_add_lshl_u32 v79, v20, v23, 3
	v_mov_b32_e32 v33, v31
	v_mov_b32_e32 v27, v25
	v_pk_add_f32 v[30:31], v[32:33], v[26:27] neg_lo:[0,1] neg_hi:[0,1]
	v_mov_b32_e32 v23, v21
	v_accvgpr_write_b32 a190, v99
	s_waitcnt vmcnt(1)
	v_pk_mul_f32 v[28:29], v[136:137], v[104:105] op_sel:[0,1]
	s_nop 0
	v_pk_fma_f32 v[34:35], v[136:137], v[104:105], v[28:29] op_sel:[0,0,1] op_sel_hi:[1,1,0] neg_lo:[0,0,1] neg_hi:[0,0,1]
	v_pk_fma_f32 v[28:29], v[136:137], v[104:105], v[28:29] op_sel:[0,0,1] op_sel_hi:[1,0,0]
	ds_read2_b64 v[136:139], v199 offset0:6 offset1:249
	v_mov_b32_e32 v24, v107
	v_mov_b32_e32 v35, v29
	s_waitcnt vmcnt(0)
	v_accvgpr_write_b32 a196, v103
	v_accvgpr_write_b32 a194, v107
	s_waitcnt lgkmcnt(0)
	v_pk_mul_f32 v[36:37], v[138:139], v[24:25] op_sel_hi:[1,0]
	v_mov_b32_e32 v24, v103
	v_pk_mul_f32 v[40:41], v[136:137], v[24:25] op_sel_hi:[1,0]
	v_pk_fma_f32 v[38:39], v[138:139], v[106:107], v[36:37] op_sel:[0,0,1] op_sel_hi:[1,1,0] neg_lo:[0,0,1] neg_hi:[0,0,1]
	v_pk_fma_f32 v[36:37], v[138:139], v[106:107], v[36:37] op_sel:[0,0,1] op_sel_hi:[1,0,0]
	v_pk_fma_f32 v[42:43], v[136:137], v[102:103], v[40:41] op_sel:[0,0,1] op_sel_hi:[1,1,0] neg_lo:[0,0,1] neg_hi:[0,0,1]
	v_pk_fma_f32 v[40:41], v[136:137], v[102:103], v[40:41] op_sel:[0,0,1] op_sel_hi:[1,0,0]
	ds_read2_b64 v[136:139], v238 offset0:8 offset1:251
	v_mov_b32_e32 v43, v41
	v_mov_b32_e32 v39, v37
	v_pk_add_f32 v[28:29], v[34:35], v[38:39]
	v_pk_add_f32 v[24:25], v[32:33], v[26:27]
	s_waitcnt lgkmcnt(0)
	v_pk_mul_f32 v[140:141], v[138:139], v[100:101] op_sel:[0,1]
	v_mov_b32_e32 v107, v149
	v_pk_fma_f32 v[142:143], v[138:139], v[100:101], v[140:141] op_sel:[0,0,1] op_sel_hi:[1,1,0] neg_lo:[0,0,1] neg_hi:[0,0,1]
	v_pk_fma_f32 v[138:139], v[138:139], v[100:101], v[140:141] op_sel:[0,0,1] op_sel_hi:[1,0,0]
	s_nop 0
	v_mov_b32_e32 v143, v139
	ds_read2_b64 v[138:141], v216 offset1:243
	v_pk_add_f32 v[144:145], v[142:143], v[42:43]
	s_waitcnt lgkmcnt(0)
	v_pk_add_f32 v[40:41], v[138:139], v[142:143]
	s_nop 0
	v_pk_add_f32 v[40:41], v[40:41], v[42:43]
	v_pk_add_f32 v[42:43], v[142:143], v[42:43] neg_lo:[0,1] neg_hi:[0,1]
	v_pk_fma_f32 v[138:139], v[144:145], 0.5, v[138:139] op_sel_hi:[1,0,1] neg_lo:[1,0,0] neg_hi:[1,0,0]
	v_pk_mul_f32 v[42:43], v[42:43], s[2:3] op_sel_hi:[1,0]
	v_pk_add_f32 v[36:37], v[140:141], v[34:35]
	v_pk_add_f32 v[146:147], v[138:139], v[42:43] op_sel:[0,1] op_sel_hi:[1,0]
	v_pk_add_f32 v[42:43], v[138:139], v[42:43] op_sel:[0,1] op_sel_hi:[1,0] neg_lo:[0,1] neg_hi:[0,1]
	ds_read_b64 v[138:139], v216 offset:50544
	ds_read2_b64 v[142:145], v198 offset0:2 offset1:245
	ds_read2_b64 v[152:155], v149 offset0:12 offset1:255
	;; [unrolled: 1-line block ×3, first 2 shown]
	v_pk_add_f32 v[34:35], v[34:35], v[38:39] neg_lo:[0,1] neg_hi:[0,1]
	v_mov_b32_e32 v160, v146
	v_mov_b32_e32 v161, v43
	v_pk_fma_f32 v[28:29], v[28:29], 0.5, v[140:141] op_sel_hi:[1,0,1] neg_lo:[1,0,0] neg_hi:[1,0,0]
	v_pk_mul_f32 v[34:35], v[34:35], s[2:3] op_sel_hi:[1,0]
	s_movk_i32 s3, 0x51
	s_waitcnt lgkmcnt(0)
	s_barrier
	ds_write2_b64 v79, v[40:41], v[160:161] offset1:27
	v_pk_add_f32 v[40:41], v[28:29], v[34:35] op_sel:[0,1] op_sel_hi:[1,0] neg_lo:[0,1] neg_hi:[0,1]
	v_pk_add_f32 v[28:29], v[28:29], v[34:35] op_sel:[0,1] op_sel_hi:[1,0]
	v_mad_legacy_u16 v4, v4, s3, v13
	v_mov_b32_e32 v43, v147
	v_pk_add_f32 v[34:35], v[36:37], v[38:39]
	v_lshlrev_b32_e32 v4, 3, v4
	v_mov_b32_e32 v36, v28
	v_mov_b32_e32 v37, v41
	v_mov_b32_e32 v41, v29
	ds_write_b64 v79, v[42:43] offset:432
	ds_write2_b64 v4, v[34:35], v[36:37] offset1:27
	v_pk_fma_f32 v[24:25], v[24:25], 0.5, v[156:157] op_sel_hi:[1,0,1] neg_lo:[1,0,0] neg_hi:[1,0,0]
	v_pk_mul_f32 v[30:31], v[30:31], s[2:3] op_sel_hi:[1,0]
	ds_write_b64 v4, v[40:41] offset:432
	v_accvgpr_write_b32 a121, v4
	v_mad_legacy_u16 v4, v6, s3, v9
	v_mov_b32_e32 v13, v5
	v_pk_add_f32 v[34:35], v[24:25], v[30:31] op_sel:[0,1] op_sel_hi:[1,0] neg_lo:[0,1] neg_hi:[0,1]
	v_pk_add_f32 v[24:25], v[24:25], v[30:31] op_sel:[0,1] op_sel_hi:[1,0]
	v_pk_add_f32 v[28:29], v[156:157], v[32:33]
	v_lshlrev_b32_e32 v87, 3, v4
	v_pk_add_f32 v[4:5], v[12:13], v[22:23]
	v_pk_add_f32 v[20:21], v[158:159], v[12:13]
	v_pk_add_f32 v[12:13], v[12:13], v[22:23] neg_lo:[0,1] neg_hi:[0,1]
	v_pk_add_f32 v[26:27], v[28:29], v[26:27]
	v_mov_b32_e32 v28, v24
	v_mov_b32_e32 v29, v35
	v_pk_fma_f32 v[4:5], v[4:5], 0.5, v[158:159] op_sel_hi:[1,0,1] neg_lo:[1,0,0] neg_hi:[1,0,0]
	v_pk_mul_f32 v[12:13], v[12:13], s[2:3] op_sel_hi:[1,0]
	ds_write2_b64 v87, v[26:27], v[28:29] offset1:27
	v_pk_add_f32 v[26:27], v[4:5], v[12:13] op_sel:[0,1] op_sel_hi:[1,0] neg_lo:[0,1] neg_hi:[0,1]
	v_pk_add_f32 v[4:5], v[4:5], v[12:13] op_sel:[0,1] op_sel_hi:[1,0]
	v_mad_legacy_u16 v6, v44, s3, v49
	v_mov_b32_e32 v35, v25
	v_pk_add_f32 v[12:13], v[20:21], v[22:23]
	v_lshlrev_b32_e32 v91, 3, v6
	v_mov_b32_e32 v20, v4
	v_mov_b32_e32 v21, v27
	v_mov_b32_e32 v9, v7
	ds_write_b64 v87, v[34:35] offset:432
	ds_write2_b64 v91, v[12:13], v[20:21] offset1:27
	v_pk_add_f32 v[6:7], v[8:9], v[130:131]
	v_pk_add_f32 v[12:13], v[8:9], v[130:131] neg_lo:[0,1] neg_hi:[0,1]
	v_pk_fma_f32 v[6:7], v[6:7], 0.5, v[152:153] op_sel_hi:[1,0,1] neg_lo:[1,0,0] neg_hi:[1,0,0]
	v_pk_mul_f32 v[12:13], v[12:13], s[2:3] op_sel_hi:[1,0]
	v_mov_b32_e32 v27, v5
	v_pk_add_f32 v[20:21], v[6:7], v[12:13] op_sel:[0,1] op_sel_hi:[1,0] neg_lo:[0,1] neg_hi:[0,1]
	v_pk_add_f32 v[6:7], v[6:7], v[12:13] op_sel:[0,1] op_sel_hi:[1,0]
	v_pk_add_f32 v[4:5], v[152:153], v[8:9]
	v_mad_legacy_u16 v8, v47, s3, v48
	v_pk_add_f32 v[4:5], v[4:5], v[130:131]
	v_lshlrev_b32_e32 v95, 3, v8
	v_mov_b32_e32 v8, v6
	v_mov_b32_e32 v9, v21
	ds_write_b64 v91, v[26:27] offset:432
	ds_write2_b64 v95, v[4:5], v[8:9] offset1:27
	v_pk_add_f32 v[4:5], v[124:125], v[122:123]
	v_pk_add_f32 v[12:13], v[124:125], v[122:123] neg_lo:[0,1] neg_hi:[0,1]
	v_pk_fma_f32 v[4:5], v[4:5], 0.5, v[154:155] op_sel_hi:[1,0,1] neg_lo:[1,0,0] neg_hi:[1,0,0]
	v_pk_add_f32 v[8:9], v[154:155], v[124:125]
	v_pk_mul_f32 v[12:13], v[12:13], s[2:3] op_sel_hi:[1,0]
	v_mov_b32_e32 v21, v7
	v_pk_add_f32 v[22:23], v[4:5], v[12:13] op_sel:[0,1] op_sel_hi:[1,0] neg_lo:[0,1] neg_hi:[0,1]
	v_pk_add_f32 v[4:5], v[4:5], v[12:13] op_sel:[0,1] op_sel_hi:[1,0]
	v_pk_add_f32 v[6:7], v[8:9], v[122:123]
	v_mad_legacy_u16 v8, v19, s3, v46
	v_lshlrev_b32_e32 v99, 3, v8
	v_mov_b32_e32 v8, v4
	v_mov_b32_e32 v9, v23
	ds_write_b64 v95, v[20:21] offset:432
	ds_write2_b64 v99, v[6:7], v[8:9] offset1:27
	v_pk_add_f32 v[6:7], v[118:119], v[114:115]
	v_pk_add_f32 v[8:9], v[118:119], v[114:115] neg_lo:[0,1] neg_hi:[0,1]
	v_pk_fma_f32 v[6:7], v[6:7], 0.5, v[142:143] op_sel_hi:[1,0,1] neg_lo:[1,0,0] neg_hi:[1,0,0]
	v_pk_mul_f32 v[8:9], v[8:9], s[2:3] op_sel_hi:[1,0]
	v_mov_b32_e32 v23, v5
	v_pk_add_f32 v[12:13], v[6:7], v[8:9] op_sel:[0,1] op_sel_hi:[1,0] neg_lo:[0,1] neg_hi:[0,1]
	v_pk_add_f32 v[6:7], v[6:7], v[8:9] op_sel:[0,1] op_sel_hi:[1,0]
	v_pk_add_f32 v[4:5], v[142:143], v[118:119]
	v_mad_legacy_u16 v1, v1, s3, v2
	v_pk_add_f32 v[4:5], v[4:5], v[114:115]
	v_lshlrev_b32_e32 v103, 3, v1
	v_mov_b32_e32 v8, v6
	v_mov_b32_e32 v9, v13
	;; [unrolled: 1-line block ×3, first 2 shown]
	ds_write_b64 v99, v[22:23] offset:432
	ds_write2_b64 v103, v[4:5], v[8:9] offset1:27
	v_pk_add_f32 v[4:5], v[108:109], v[18:19]
	v_pk_add_f32 v[20:21], v[108:109], v[18:19] neg_lo:[0,1] neg_hi:[0,1]
	v_pk_fma_f32 v[4:5], v[4:5], 0.5, v[144:145] op_sel_hi:[1,0,1] neg_lo:[1,0,0] neg_hi:[1,0,0]
	v_pk_mul_f32 v[20:21], v[20:21], s[2:3] op_sel_hi:[1,0]
	v_pk_add_f32 v[8:9], v[144:145], v[108:109]
	v_pk_add_f32 v[22:23], v[4:5], v[20:21] op_sel:[0,1] op_sel_hi:[1,0] neg_lo:[0,1] neg_hi:[0,1]
	v_pk_add_f32 v[4:5], v[4:5], v[20:21] op_sel:[0,1] op_sel_hi:[1,0]
	v_mov_b32_e32 v13, v7
	v_pk_add_f32 v[6:7], v[8:9], v[18:19]
	v_mad_legacy_u16 v1, v10, s3, v14
	v_mov_b32_e32 v8, v4
	v_mov_b32_e32 v4, v75
	v_lshlrev_b32_e32 v83, 3, v1
	v_mov_b32_e32 v9, v23
	v_mov_b32_e32 v1, v3
	v_pk_mul_f32 v[2:3], v[138:139], v[4:5] op_sel_hi:[1,0]
	ds_write_b64 v103, v[12:13] offset:432
	ds_write2_b64 v83, v[6:7], v[8:9] offset1:27
	v_pk_fma_f32 v[6:7], v[138:139], v[74:75], v[2:3] op_sel:[0,0,1] op_sel_hi:[1,1,0] neg_lo:[0,0,1] neg_hi:[0,0,1]
	v_pk_fma_f32 v[2:3], v[138:139], v[74:75], v[2:3] op_sel:[0,0,1] op_sel_hi:[1,0,0]
	v_pk_add_f32 v[8:9], v[136:137], v[0:1]
	v_mov_b32_e32 v7, v3
	v_pk_add_f32 v[2:3], v[0:1], v[6:7]
	v_pk_add_f32 v[0:1], v[0:1], v[6:7] neg_lo:[0,1] neg_hi:[0,1]
	v_pk_fma_f32 v[2:3], v[2:3], 0.5, v[136:137] op_sel_hi:[1,0,1] neg_lo:[1,0,0] neg_hi:[1,0,0]
	v_pk_mul_f32 v[0:1], v[0:1], s[2:3] op_sel_hi:[1,0]
	v_mov_b32_e32 v23, v5
	v_pk_add_f32 v[4:5], v[8:9], v[6:7]
	v_pk_add_f32 v[6:7], v[2:3], v[0:1] op_sel:[0,1] op_sel_hi:[1,0]
	v_pk_add_f32 v[0:1], v[2:3], v[0:1] op_sel:[0,1] op_sel_hi:[1,0] neg_lo:[0,1] neg_hi:[0,1]
	v_mad_legacy_u16 v2, v11, s3, v15
	v_lshlrev_b32_e32 v75, 3, v2
	v_mov_b32_e32 v3, v1
	v_mov_b32_e32 v1, v7
	s_movk_i32 s3, 0x6523
	ds_write_b64 v83, v[22:23] offset:432
	ds_write_b64 v75, v[0:1] offset:432
	v_mul_u32_u24_sdwa v0, v226, s3 dst_sel:DWORD dst_unused:UNUSED_PAD src0_sel:WORD_0 src1_sel:DWORD
	v_lshrrev_b32_e32 v44, 21, v0
	v_mul_lo_u16_e32 v0, 0x51, v44
	v_sub_u16_e32 v45, v226, v0
	v_mov_b32_e32 v2, v6
	v_lshlrev_b16_e32 v0, 4, v45
	v_mov_b32_e32 v1, v217
	ds_write2_b64 v75, v[4:5], v[2:3] offset1:27
	v_lshl_add_u64 v[4:5], s[10:11], 0, v[0:1]
	v_mul_u32_u24_sdwa v0, v232, s3 dst_sel:DWORD dst_unused:UNUSED_PAD src0_sel:WORD_0 src1_sel:DWORD
	v_lshrrev_b32_e32 v46, 21, v0
	v_mul_lo_u16_e32 v0, 0x51, v46
	v_sub_u16_e32 v47, v232, v0
	v_lshlrev_b16_e32 v0, 4, v47
	v_lshl_add_u64 v[0:1], s[10:11], 0, v[0:1]
	s_waitcnt lgkmcnt(0)
	s_barrier
	global_load_dwordx4 v[108:111], v[0:1], off offset:624
	ds_read2_b64 v[120:123], v127 offset1:243
	v_mov_b32_e32 v7, v217
	v_mov_b32_e32 v9, v217
	;; [unrolled: 1-line block ×4, first 2 shown]
	s_waitcnt vmcnt(0) lgkmcnt(0)
	v_pk_mul_f32 v[2:3], v[122:123], v[108:109] op_sel:[0,1]
	s_nop 0
	v_pk_fma_f32 v[0:1], v[122:123], v[108:109], v[2:3] op_sel:[0,0,1] op_sel_hi:[1,1,0] neg_lo:[0,0,1] neg_hi:[0,0,1]
	v_pk_fma_f32 v[2:3], v[122:123], v[108:109], v[2:3] op_sel:[0,0,1] op_sel_hi:[1,0,0]
	v_mul_u32_u24_sdwa v1, v224, s3 dst_sel:DWORD dst_unused:UNUSED_PAD src0_sel:WORD_0 src1_sel:DWORD
	v_lshrrev_b32_e32 v1, 21, v1
	v_mul_lo_u16_e32 v2, 0x51, v1
	v_sub_u16_e32 v2, v224, v2
	v_lshlrev_b16_e32 v6, 4, v2
	v_lshl_add_u64 v[6:7], s[10:11], 0, v[6:7]
	global_load_dwordx4 v[116:119], v[4:5], off offset:624
	global_load_dwordx4 v[112:115], v[6:7], off offset:624
	ds_read2_b64 v[128:131], v239 offset0:10 offset1:253
	v_mad_legacy_u16 v1, v1, s16, v2
	v_accvgpr_write_b32 a226, v111
	s_waitcnt vmcnt(1)
	v_pk_mul_f32 v[4:5], v[120:121], v[116:117] op_sel:[0,1]
	s_nop 0
	v_pk_fma_f32 v[136:137], v[120:121], v[116:117], v[4:5] op_sel:[0,0,1] op_sel_hi:[1,1,0] neg_lo:[0,0,1] neg_hi:[0,0,1]
	v_pk_fma_f32 v[138:139], v[120:121], v[116:117], v[4:5] op_sel:[0,0,1] op_sel_hi:[1,0,0]
	ds_read2_b64 v[120:123], v241 offset0:8 offset1:251
	v_mov_b32_e32 v6, v119
	v_mov_b32_e32 v137, v139
	s_waitcnt vmcnt(0)
	v_accvgpr_write_b32 a200, v115
	v_accvgpr_write_b32 a198, v119
	s_waitcnt lgkmcnt(0)
	v_pk_mul_f32 v[4:5], v[122:123], v[6:7] op_sel_hi:[1,0]
	v_mov_b32_e32 v6, v115
	v_pk_fma_f32 v[18:19], v[122:123], v[118:119], v[4:5] op_sel:[0,0,1] op_sel_hi:[1,1,0] neg_lo:[0,0,1] neg_hi:[0,0,1]
	v_pk_fma_f32 v[152:153], v[122:123], v[118:119], v[4:5] op_sel:[0,0,1] op_sel_hi:[1,0,0]
	v_pk_mul_f32 v[4:5], v[120:121], v[6:7] op_sel_hi:[1,0]
	v_pk_mul_f32 v[6:7], v[130:131], v[112:113] op_sel:[0,1]
	v_pk_fma_f32 v[154:155], v[120:121], v[114:115], v[4:5] op_sel:[0,0,1] op_sel_hi:[1,1,0] neg_lo:[0,0,1] neg_hi:[0,0,1]
	v_pk_fma_f32 v[156:157], v[120:121], v[114:115], v[4:5] op_sel:[0,0,1] op_sel_hi:[1,0,0]
	v_mul_u32_u24_sdwa v4, v218, s3 dst_sel:DWORD dst_unused:UNUSED_PAD src0_sel:WORD_0 src1_sel:DWORD
	v_lshrrev_b32_e32 v19, 21, v4
	v_pk_fma_f32 v[158:159], v[130:131], v[112:113], v[6:7] op_sel:[0,0,1] op_sel_hi:[1,1,0] neg_lo:[0,0,1] neg_hi:[0,0,1]
	v_pk_fma_f32 v[160:161], v[130:131], v[112:113], v[6:7] op_sel:[0,0,1] op_sel_hi:[1,0,0]
	v_mul_u32_u24_sdwa v6, v134, s3 dst_sel:DWORD dst_unused:UNUSED_PAD src0_sel:WORD_0 src1_sel:DWORD
	v_mul_lo_u16_e32 v4, 0x51, v19
	v_lshrrev_b32_e32 v49, 21, v6
	v_sub_u16_e32 v48, v218, v4
	v_mul_lo_u16_e32 v6, 0x51, v49
	v_lshlrev_b16_e32 v4, 4, v48
	v_mov_b32_e32 v5, v217
	v_sub_u16_e32 v50, v134, v6
	v_lshl_add_u64 v[4:5], s[10:11], 0, v[4:5]
	v_lshlrev_b16_e32 v6, 4, v50
	v_mov_b32_e32 v7, v217
	v_lshl_add_u64 v[6:7], s[10:11], 0, v[6:7]
	global_load_dwordx4 v[68:71], v[4:5], off offset:624
	global_load_dwordx4 v[120:123], v[6:7], off offset:624
	ds_read2_b64 v[140:143], v209 offset0:4 offset1:247
	v_mov_b32_e32 v159, v161
	v_mov_b32_e32 v155, v157
	;; [unrolled: 1-line block ×4, first 2 shown]
	s_waitcnt vmcnt(1)
	v_pk_mul_f32 v[4:5], v[128:129], v[68:69] op_sel:[0,1]
	s_nop 0
	v_pk_fma_f32 v[164:165], v[128:129], v[68:69], v[4:5] op_sel:[0,0,1] op_sel_hi:[1,1,0] neg_lo:[0,0,1] neg_hi:[0,0,1]
	v_pk_fma_f32 v[166:167], v[128:129], v[68:69], v[4:5] op_sel:[0,0,1] op_sel_hi:[1,0,0]
	ds_read2_b64 v[128:131], v242 offset0:2 offset1:245
	v_mov_b32_e32 v6, v71
	s_waitcnt vmcnt(0) lgkmcnt(1)
	v_pk_mul_f32 v[10:11], v[142:143], v[120:121] op_sel:[0,1]
	v_accvgpr_write_b32 a204, v123
	v_pk_fma_f32 v[12:13], v[142:143], v[120:121], v[10:11] op_sel:[0,0,1] op_sel_hi:[1,1,0] neg_lo:[0,0,1] neg_hi:[0,0,1]
	s_waitcnt lgkmcnt(0)
	v_pk_mul_f32 v[4:5], v[130:131], v[6:7] op_sel_hi:[1,0]
	v_mov_b32_e32 v6, v123
	v_pk_fma_f32 v[162:163], v[130:131], v[70:71], v[4:5] op_sel:[0,0,1] op_sel_hi:[1,1,0] neg_lo:[0,0,1] neg_hi:[0,0,1]
	v_pk_fma_f32 v[168:169], v[130:131], v[70:71], v[4:5] op_sel:[0,0,1] op_sel_hi:[1,0,0]
	v_pk_mul_f32 v[4:5], v[128:129], v[6:7] op_sel_hi:[1,0]
	v_pk_fma_f32 v[10:11], v[142:143], v[120:121], v[10:11] op_sel:[0,0,1] op_sel_hi:[1,0,0]
	v_pk_fma_f32 v[6:7], v[128:129], v[122:123], v[4:5] op_sel:[0,0,1] op_sel_hi:[1,1,0] neg_lo:[0,0,1] neg_hi:[0,0,1]
	v_pk_fma_f32 v[4:5], v[128:129], v[122:123], v[4:5] op_sel:[0,0,1] op_sel_hi:[1,0,0]
	v_mul_u32_u24_sdwa v10, v150, s3 dst_sel:DWORD dst_unused:UNUSED_PAD src0_sel:WORD_0 src1_sel:DWORD
	v_mul_u32_u24_sdwa v4, v126, s3 dst_sel:DWORD dst_unused:UNUSED_PAD src0_sel:WORD_0 src1_sel:DWORD
	v_lshrrev_b32_e32 v4, 21, v4
	v_mul_lo_u16_e32 v7, 0x51, v4
	v_lshrrev_b32_e32 v10, 21, v10
	v_sub_u16_e32 v7, v126, v7
	v_mul_lo_u16_e32 v13, 0x51, v10
	v_lshlrev_b16_e32 v8, 4, v7
	v_sub_u16_e32 v13, v150, v13
	v_lshl_add_u64 v[8:9], s[10:11], 0, v[8:9]
	v_lshlrev_b16_e32 v14, 4, v13
	v_lshl_add_u64 v[14:15], s[10:11], 0, v[14:15]
	global_load_dwordx4 v[64:67], v[8:9], off offset:624
	global_load_dwordx4 v[128:131], v[14:15], off offset:624
	ds_read2_b64 v[170:173], v246 offset0:6 offset1:249
	v_mad_legacy_u16 v4, v4, s16, v7
	v_mov_b32_e32 v7, v5
	v_lshlrev_b32_e32 v123, 3, v4
	v_mov_b32_e32 v165, v167
	v_mov_b32_e32 v163, v169
	v_accvgpr_write_b32 a202, v71
	s_waitcnt vmcnt(1)
	v_pk_mul_f32 v[8:9], v[140:141], v[64:65] op_sel:[0,1]
	s_nop 0
	v_pk_fma_f32 v[14:15], v[140:141], v[64:65], v[8:9] op_sel:[0,0,1] op_sel_hi:[1,1,0] neg_lo:[0,0,1] neg_hi:[0,0,1]
	v_pk_fma_f32 v[8:9], v[140:141], v[64:65], v[8:9] op_sel:[0,0,1] op_sel_hi:[1,0,0]
	ds_read2_b64 v[140:143], v240 offset0:12 offset1:255
	v_mov_b32_e32 v8, v67
	s_waitcnt vmcnt(0) lgkmcnt(1)
	v_pk_mul_f32 v[30:31], v[172:173], v[128:129] op_sel:[0,1]
	v_accvgpr_write_b32 a208, v131
	v_pk_fma_f32 v[32:33], v[172:173], v[128:129], v[30:31] op_sel:[0,0,1] op_sel_hi:[1,1,0] neg_lo:[0,0,1] neg_hi:[0,0,1]
	s_waitcnt lgkmcnt(0)
	v_pk_mul_f32 v[20:21], v[142:143], v[8:9] op_sel_hi:[1,0]
	v_mov_b32_e32 v8, v131
	v_pk_fma_f32 v[22:23], v[142:143], v[66:67], v[20:21] op_sel:[0,0,1] op_sel_hi:[1,1,0] neg_lo:[0,0,1] neg_hi:[0,0,1]
	v_pk_fma_f32 v[20:21], v[142:143], v[66:67], v[20:21] op_sel:[0,0,1] op_sel_hi:[1,0,0]
	v_pk_mul_f32 v[24:25], v[140:141], v[8:9] op_sel_hi:[1,0]
	v_mul_u32_u24_sdwa v8, v148, s3 dst_sel:DWORD dst_unused:UNUSED_PAD src0_sel:WORD_0 src1_sel:DWORD
	s_movk_i32 s3, 0xcb
	v_lshrrev_b32_e32 v8, 21, v8
	v_mul_lo_u16_sdwa v20, v174, s3 dst_sel:DWORD dst_unused:UNUSED_PAD src0_sel:BYTE_0 src1_sel:DWORD
	v_mul_lo_u16_e32 v15, 0x51, v8
	v_lshrrev_b16_e32 v20, 14, v20
	v_sub_u16_e32 v15, v148, v15
	v_mul_lo_u16_e32 v23, 0x51, v20
	v_lshlrev_b16_e32 v28, 4, v15
	v_sub_u16_e32 v23, v174, v23
	v_pk_fma_f32 v[26:27], v[140:141], v[130:131], v[24:25] op_sel:[0,0,1] op_sel_hi:[1,1,0] neg_lo:[0,0,1] neg_hi:[0,0,1]
	v_pk_fma_f32 v[24:25], v[140:141], v[130:131], v[24:25] op_sel:[0,0,1] op_sel_hi:[1,0,0]
	v_lshl_add_u64 v[28:29], s[10:11], 0, v[28:29]
	v_and_b32_e32 v23, 0xff, v23
	v_lshlrev_b32_e32 v24, 4, v23
	global_load_dwordx4 v[144:147], v[28:29], off offset:624
	global_load_dwordx4 v[140:143], v24, s[10:11] offset:624
	v_pk_fma_f32 v[30:31], v[172:173], v[128:129], v[30:31] op_sel:[0,0,1] op_sel_hi:[1,0,0]
	v_mul_u32_u24_e32 v20, 0xf3, v20
	v_add_lshl_u32 v20, v20, v23, 3
	v_mov_b32_e32 v33, v31
	v_mov_b32_e32 v27, v25
	v_mad_legacy_u16 v8, v8, s16, v15
	v_pk_add_f32 v[30:31], v[32:33], v[26:27] neg_lo:[0,1] neg_hi:[0,1]
	v_lshlrev_b32_e32 v8, 3, v8
	v_pk_mul_f32 v[30:31], v[30:31], s[2:3] op_sel_hi:[1,0]
	v_accvgpr_write_b32 a127, v8
	v_mov_b32_e32 v15, v9
	v_mov_b32_e32 v23, v21
	v_accvgpr_write_b32 a123, v20
	v_accvgpr_write_b32 a206, v67
	s_waitcnt vmcnt(1)
	v_pk_mul_f32 v[28:29], v[170:171], v[144:145] op_sel:[0,1]
	s_nop 0
	v_pk_fma_f32 v[34:35], v[170:171], v[144:145], v[28:29] op_sel:[0,0,1] op_sel_hi:[1,1,0] neg_lo:[0,0,1] neg_hi:[0,0,1]
	v_pk_fma_f32 v[28:29], v[170:171], v[144:145], v[28:29] op_sel:[0,0,1] op_sel_hi:[1,0,0]
	ds_read2_b64 v[170:173], v199 offset0:6 offset1:249
	v_mov_b32_e32 v24, v147
	v_mov_b32_e32 v35, v29
	s_waitcnt vmcnt(0)
	v_accvgpr_write_b32 a214, v143
	v_accvgpr_write_b32 a212, v147
	s_waitcnt lgkmcnt(0)
	v_pk_mul_f32 v[36:37], v[172:173], v[24:25] op_sel_hi:[1,0]
	v_mov_b32_e32 v24, v143
	v_pk_mul_f32 v[40:41], v[170:171], v[24:25] op_sel_hi:[1,0]
	v_pk_fma_f32 v[38:39], v[172:173], v[146:147], v[36:37] op_sel:[0,0,1] op_sel_hi:[1,1,0] neg_lo:[0,0,1] neg_hi:[0,0,1]
	v_pk_fma_f32 v[36:37], v[172:173], v[146:147], v[36:37] op_sel:[0,0,1] op_sel_hi:[1,0,0]
	v_pk_fma_f32 v[42:43], v[170:171], v[142:143], v[40:41] op_sel:[0,0,1] op_sel_hi:[1,1,0] neg_lo:[0,0,1] neg_hi:[0,0,1]
	v_pk_fma_f32 v[40:41], v[170:171], v[142:143], v[40:41] op_sel:[0,0,1] op_sel_hi:[1,0,0]
	ds_read2_b64 v[170:173], v238 offset0:8 offset1:251
	v_mov_b32_e32 v43, v41
	v_mov_b32_e32 v39, v37
	v_pk_add_f32 v[28:29], v[34:35], v[38:39]
	v_pk_add_f32 v[24:25], v[32:33], v[26:27]
	s_waitcnt lgkmcnt(0)
	v_pk_mul_f32 v[174:175], v[172:173], v[140:141] op_sel:[0,1]
	v_lshlrev_b32_e32 v143, 3, v1
	v_pk_fma_f32 v[176:177], v[172:173], v[140:141], v[174:175] op_sel:[0,0,1] op_sel_hi:[1,1,0] neg_lo:[0,0,1] neg_hi:[0,0,1]
	v_pk_fma_f32 v[172:173], v[172:173], v[140:141], v[174:175] op_sel:[0,0,1] op_sel_hi:[1,0,0]
	v_mad_legacy_u16 v1, v44, s16, v45
	v_mov_b32_e32 v177, v173
	ds_read2_b64 v[172:175], v216 offset1:243
	v_pk_add_f32 v[178:179], v[176:177], v[42:43]
	v_lshlrev_b32_e32 v147, 3, v1
	v_mov_b32_e32 v1, v3
	s_waitcnt lgkmcnt(0)
	v_pk_add_f32 v[40:41], v[172:173], v[176:177]
	s_nop 0
	v_pk_add_f32 v[40:41], v[40:41], v[42:43]
	v_pk_add_f32 v[42:43], v[176:177], v[42:43] neg_lo:[0,1] neg_hi:[0,1]
	v_pk_fma_f32 v[172:173], v[178:179], 0.5, v[172:173] op_sel_hi:[1,0,1] neg_lo:[1,0,0] neg_hi:[1,0,0]
	v_pk_mul_f32 v[42:43], v[42:43], s[2:3] op_sel_hi:[1,0]
	v_pk_add_f32 v[36:37], v[174:175], v[34:35]
	v_pk_add_f32 v[188:189], v[172:173], v[42:43] op_sel:[0,1] op_sel_hi:[1,0]
	v_pk_add_f32 v[42:43], v[172:173], v[42:43] op_sel:[0,1] op_sel_hi:[1,0] neg_lo:[0,1] neg_hi:[0,1]
	ds_read_b64 v[172:173], v216 offset:50544
	ds_read2_b64 v[176:179], v198 offset0:2 offset1:245
	ds_read2_b64 v[180:183], v149 offset0:12 offset1:255
	;; [unrolled: 1-line block ×3, first 2 shown]
	v_pk_add_f32 v[34:35], v[34:35], v[38:39] neg_lo:[0,1] neg_hi:[0,1]
	v_mov_b32_e32 v190, v188
	v_mov_b32_e32 v191, v43
	v_pk_fma_f32 v[28:29], v[28:29], 0.5, v[174:175] op_sel_hi:[1,0,1] neg_lo:[1,0,0] neg_hi:[1,0,0]
	v_pk_mul_f32 v[34:35], v[34:35], s[2:3] op_sel_hi:[1,0]
	s_waitcnt lgkmcnt(0)
	s_barrier
	ds_write2_b64 v20, v[40:41], v[190:191] offset1:81
	v_pk_add_f32 v[40:41], v[28:29], v[34:35] op_sel:[0,1] op_sel_hi:[1,0] neg_lo:[0,1] neg_hi:[0,1]
	v_pk_add_f32 v[28:29], v[28:29], v[34:35] op_sel:[0,1] op_sel_hi:[1,0]
	v_mov_b32_e32 v43, v189
	v_pk_add_f32 v[34:35], v[36:37], v[38:39]
	v_mov_b32_e32 v36, v28
	v_mov_b32_e32 v37, v41
	v_pk_fma_f32 v[24:25], v[24:25], 0.5, v[184:185] op_sel_hi:[1,0,1] neg_lo:[1,0,0] neg_hi:[1,0,0]
	v_mov_b32_e32 v41, v29
	ds_write_b64 v20, v[42:43] offset:1296
	ds_write2_b64 v8, v[34:35], v[36:37] offset1:81
	v_pk_add_f32 v[34:35], v[24:25], v[30:31] op_sel:[0,1] op_sel_hi:[1,0] neg_lo:[0,1] neg_hi:[0,1]
	v_pk_add_f32 v[24:25], v[24:25], v[30:31] op_sel:[0,1] op_sel_hi:[1,0]
	ds_write_b64 v8, v[40:41] offset:1296
	v_pk_add_f32 v[28:29], v[184:185], v[32:33]
	v_mad_legacy_u16 v8, v10, s16, v13
	v_pk_add_f32 v[26:27], v[28:29], v[26:27]
	v_lshlrev_b32_e32 v8, 3, v8
	v_mov_b32_e32 v28, v24
	v_mov_b32_e32 v29, v35
	ds_write2_b64 v8, v[26:27], v[28:29] offset1:81
	v_mov_b32_e32 v10, v8
	v_pk_add_f32 v[8:9], v[14:15], v[22:23]
	v_pk_add_f32 v[20:21], v[186:187], v[14:15]
	v_pk_add_f32 v[14:15], v[14:15], v[22:23] neg_lo:[0,1] neg_hi:[0,1]
	v_pk_fma_f32 v[8:9], v[8:9], 0.5, v[186:187] op_sel_hi:[1,0,1] neg_lo:[1,0,0] neg_hi:[1,0,0]
	v_pk_mul_f32 v[14:15], v[14:15], s[2:3] op_sel_hi:[1,0]
	v_mov_b32_e32 v35, v25
	v_mov_b32_e32 v13, v11
	v_pk_add_f32 v[26:27], v[8:9], v[14:15] op_sel:[0,1] op_sel_hi:[1,0] neg_lo:[0,1] neg_hi:[0,1]
	v_pk_add_f32 v[8:9], v[8:9], v[14:15] op_sel:[0,1] op_sel_hi:[1,0]
	ds_write_b64 v10, v[34:35] offset:1296
	v_accvgpr_write_b32 a133, v10
	v_pk_add_f32 v[4:5], v[12:13], v[6:7]
	v_pk_add_f32 v[10:11], v[12:13], v[6:7] neg_lo:[0,1] neg_hi:[0,1]
	v_pk_add_f32 v[14:15], v[20:21], v[22:23]
	v_mov_b32_e32 v20, v8
	v_mov_b32_e32 v21, v27
	v_pk_fma_f32 v[4:5], v[4:5], 0.5, v[180:181] op_sel_hi:[1,0,1] neg_lo:[1,0,0] neg_hi:[1,0,0]
	v_pk_mul_f32 v[10:11], v[10:11], s[2:3] op_sel_hi:[1,0]
	v_mov_b32_e32 v27, v9
	v_pk_add_f32 v[8:9], v[180:181], v[12:13]
	ds_write2_b64 v123, v[14:15], v[20:21] offset1:81
	v_pk_add_f32 v[14:15], v[4:5], v[10:11] op_sel:[0,1] op_sel_hi:[1,0] neg_lo:[0,1] neg_hi:[0,1]
	v_pk_add_f32 v[4:5], v[4:5], v[10:11] op_sel:[0,1] op_sel_hi:[1,0]
	v_pk_add_f32 v[6:7], v[8:9], v[6:7]
	v_mad_legacy_u16 v8, v49, s16, v50
	v_lshlrev_b32_e32 v131, 3, v8
	v_mov_b32_e32 v8, v4
	v_mov_b32_e32 v9, v15
	ds_write_b64 v123, v[26:27] offset:1296
	ds_write2_b64 v131, v[6:7], v[8:9] offset1:81
	v_pk_add_f32 v[6:7], v[164:165], v[162:163]
	v_pk_add_f32 v[10:11], v[164:165], v[162:163] neg_lo:[0,1] neg_hi:[0,1]
	v_pk_fma_f32 v[6:7], v[6:7], 0.5, v[182:183] op_sel_hi:[1,0,1] neg_lo:[1,0,0] neg_hi:[1,0,0]
	v_pk_add_f32 v[8:9], v[182:183], v[164:165]
	v_pk_mul_f32 v[10:11], v[10:11], s[2:3] op_sel_hi:[1,0]
	v_mov_b32_e32 v15, v5
	v_pk_add_f32 v[12:13], v[6:7], v[10:11] op_sel:[0,1] op_sel_hi:[1,0] neg_lo:[0,1] neg_hi:[0,1]
	v_pk_add_f32 v[6:7], v[6:7], v[10:11] op_sel:[0,1] op_sel_hi:[1,0]
	v_pk_add_f32 v[4:5], v[8:9], v[162:163]
	v_mad_legacy_u16 v8, v19, s16, v48
	v_lshlrev_b32_e32 v71, 3, v8
	v_mov_b32_e32 v8, v6
	v_mov_b32_e32 v9, v13
	ds_write_b64 v131, v[14:15] offset:1296
	ds_write2_b64 v71, v[4:5], v[8:9] offset1:81
	v_pk_add_f32 v[4:5], v[158:159], v[154:155]
	v_pk_add_f32 v[8:9], v[158:159], v[154:155] neg_lo:[0,1] neg_hi:[0,1]
	v_pk_fma_f32 v[4:5], v[4:5], 0.5, v[176:177] op_sel_hi:[1,0,1] neg_lo:[1,0,0] neg_hi:[1,0,0]
	v_pk_mul_f32 v[8:9], v[8:9], s[2:3] op_sel_hi:[1,0]
	v_mov_b32_e32 v13, v7
	v_pk_add_f32 v[10:11], v[4:5], v[8:9] op_sel:[0,1] op_sel_hi:[1,0] neg_lo:[0,1] neg_hi:[0,1]
	v_pk_add_f32 v[4:5], v[4:5], v[8:9] op_sel:[0,1] op_sel_hi:[1,0]
	v_pk_add_f32 v[6:7], v[176:177], v[158:159]
	v_mov_b32_e32 v8, v4
	v_pk_add_f32 v[6:7], v[6:7], v[154:155]
	v_mov_b32_e32 v9, v11
	v_mov_b32_e32 v19, v153
	ds_write_b64 v71, v[12:13] offset:1296
	ds_write2_b64 v143, v[6:7], v[8:9] offset1:81
	v_pk_add_f32 v[6:7], v[136:137], v[18:19]
	v_pk_add_f32 v[12:13], v[136:137], v[18:19] neg_lo:[0,1] neg_hi:[0,1]
	v_pk_fma_f32 v[6:7], v[6:7], 0.5, v[178:179] op_sel_hi:[1,0,1] neg_lo:[1,0,0] neg_hi:[1,0,0]
	v_pk_mul_f32 v[12:13], v[12:13], s[2:3] op_sel_hi:[1,0]
	v_pk_add_f32 v[8:9], v[178:179], v[136:137]
	v_pk_add_f32 v[14:15], v[6:7], v[12:13] op_sel:[0,1] op_sel_hi:[1,0] neg_lo:[0,1] neg_hi:[0,1]
	v_pk_add_f32 v[6:7], v[6:7], v[12:13] op_sel:[0,1] op_sel_hi:[1,0]
	v_mov_b32_e32 v11, v5
	v_pk_add_f32 v[4:5], v[8:9], v[18:19]
	v_mov_b32_e32 v8, v6
	v_mov_b32_e32 v9, v15
	ds_write_b64 v143, v[10:11] offset:1296
	ds_write2_b64 v147, v[4:5], v[8:9] offset1:81
	v_mov_b32_e32 v4, v111
	v_pk_mul_f32 v[2:3], v[172:173], v[4:5] op_sel_hi:[1,0]
	v_pk_add_f32 v[8:9], v[170:171], v[0:1]
	v_pk_fma_f32 v[4:5], v[172:173], v[110:111], v[2:3] op_sel:[0,0,1] op_sel_hi:[1,1,0] neg_lo:[0,0,1] neg_hi:[0,0,1]
	v_pk_fma_f32 v[2:3], v[172:173], v[110:111], v[2:3] op_sel:[0,0,1] op_sel_hi:[1,0,0]
	v_mov_b32_e32 v15, v7
	v_mov_b32_e32 v5, v3
	v_pk_add_f32 v[2:3], v[0:1], v[4:5]
	v_pk_add_f32 v[0:1], v[0:1], v[4:5] neg_lo:[0,1] neg_hi:[0,1]
	v_pk_fma_f32 v[2:3], v[2:3], 0.5, v[170:171] op_sel_hi:[1,0,1] neg_lo:[1,0,0] neg_hi:[1,0,0]
	v_pk_mul_f32 v[0:1], v[0:1], s[2:3] op_sel_hi:[1,0]
	v_lshlrev_b32_e32 v18, 4, v52
	v_pk_add_f32 v[10:11], v[2:3], v[0:1] op_sel:[0,1] op_sel_hi:[1,0] neg_lo:[0,1] neg_hi:[0,1]
	v_pk_add_f32 v[0:1], v[2:3], v[0:1] op_sel:[0,1] op_sel_hi:[1,0]
	v_pk_add_f32 v[2:3], v[8:9], v[4:5]
	v_mad_legacy_u16 v4, v46, s16, v47
	v_lshlrev_b32_e32 v67, 3, v4
	v_mov_b32_e32 v4, v0
	v_mov_b32_e32 v5, v11
	;; [unrolled: 1-line block ×3, first 2 shown]
	ds_write_b64 v147, v[14:15] offset:1296
	ds_write2_b64 v67, v[2:3], v[4:5] offset1:81
	ds_write_b64 v67, v[10:11] offset:1296
	s_waitcnt lgkmcnt(0)
	s_barrier
	global_load_dwordx4 v[136:139], v18, s[10:11] offset:1920
	ds_read2_b64 v[0:3], v199 offset0:6 offset1:249
	s_movk_i32 s3, 0xdb3
	ds_read2_b64 v[170:173], v127 offset1:243
	v_mov_b32_e32 v21, v217
	v_mov_b32_e32 v27, v217
	;; [unrolled: 1-line block ×3, first 2 shown]
	s_waitcnt vmcnt(0)
	v_mov_b32_e32 v6, v139
	s_waitcnt lgkmcnt(1)
	v_pk_mul_f32 v[4:5], v[0:1], v[6:7] op_sel_hi:[1,0]
	v_accvgpr_write_b32 a210, v139
	v_pk_fma_f32 v[180:181], v[0:1], v[138:139], v[4:5] op_sel:[0,0,1] op_sel_hi:[1,1,0] neg_lo:[0,0,1] neg_hi:[0,0,1]
	v_pk_fma_f32 v[192:193], v[0:1], v[138:139], v[4:5] op_sel:[0,0,1] op_sel_hi:[1,0,0]
	v_pk_mul_f32 v[0:1], v[2:3], v[6:7] op_sel_hi:[1,0]
	v_mov_b32_e32 v7, v217
	v_pk_fma_f32 v[164:165], v[2:3], v[138:139], v[0:1] op_sel:[0,0,1] op_sel_hi:[1,1,0] neg_lo:[0,0,1] neg_hi:[0,0,1]
	v_pk_fma_f32 v[168:169], v[2:3], v[138:139], v[0:1] op_sel:[0,0,1] op_sel_hi:[1,0,0]
	v_mul_u32_u24_sdwa v0, v232, s3 dst_sel:DWORD dst_unused:UNUSED_PAD src0_sel:WORD_0 src1_sel:DWORD
	v_sub_u16_sdwa v1, v232, v0 dst_sel:DWORD dst_unused:UNUSED_PAD src0_sel:DWORD src1_sel:WORD_1
	v_lshrrev_b16_e32 v1, 1, v1
	v_add_u16_sdwa v0, v1, v0 dst_sel:DWORD dst_unused:UNUSED_PAD src0_sel:DWORD src1_sel:WORD_1
	v_mul_u32_u24_sdwa v1, v226, s3 dst_sel:DWORD dst_unused:UNUSED_PAD src0_sel:WORD_0 src1_sel:DWORD
	v_sub_u16_sdwa v2, v226, v1 dst_sel:DWORD dst_unused:UNUSED_PAD src0_sel:DWORD src1_sel:WORD_1
	v_lshrrev_b16_e32 v2, 1, v2
	v_add_u16_sdwa v2, v2, v1 dst_sel:DWORD dst_unused:UNUSED_PAD src0_sel:DWORD src1_sel:WORD_1
	v_mul_u32_u24_sdwa v1, v224, s3 dst_sel:DWORD dst_unused:UNUSED_PAD src0_sel:WORD_0 src1_sel:DWORD
	v_lshrrev_b16_e32 v0, 7, v0
	v_sub_u16_sdwa v3, v224, v1 dst_sel:DWORD dst_unused:UNUSED_PAD src0_sel:DWORD src1_sel:WORD_1
	v_mul_lo_u16_e32 v0, 0xf3, v0
	v_lshrrev_b16_e32 v3, 1, v3
	v_sub_u16_e32 v19, v232, v0
	v_add_u16_sdwa v6, v3, v1 dst_sel:DWORD dst_unused:UNUSED_PAD src0_sel:DWORD src1_sel:WORD_1
	v_lshlrev_b16_e32 v0, 4, v19
	v_mov_b32_e32 v1, v217
	v_lshl_add_u64 v[0:1], s[10:11], 0, v[0:1]
	global_load_dwordx4 v[160:163], v[0:1], off offset:1920
	v_lshrrev_b16_e32 v2, 7, v2
	v_mul_lo_u16_e32 v2, 0xf3, v2
	v_sub_u16_e32 v46, v226, v2
	v_lshlrev_b16_e32 v2, 4, v46
	v_mov_b32_e32 v3, v217
	v_lshl_add_u64 v[4:5], s[10:11], 0, v[2:3]
	v_mov_b32_e32 v181, v193
	v_mov_b32_e32 v165, v169
	s_waitcnt vmcnt(0) lgkmcnt(0)
	v_pk_mul_f32 v[2:3], v[172:173], v[160:161] op_sel:[0,1]
	s_nop 0
	v_pk_fma_f32 v[0:1], v[172:173], v[160:161], v[2:3] op_sel:[0,0,1] op_sel_hi:[1,1,0] neg_lo:[0,0,1] neg_hi:[0,0,1]
	v_pk_fma_f32 v[2:3], v[172:173], v[160:161], v[2:3] op_sel:[0,0,1] op_sel_hi:[1,0,0]
	v_lshrrev_b16_e32 v1, 7, v6
	v_mul_lo_u16_e32 v1, 0xf3, v1
	v_sub_u16_e32 v1, v224, v1
	v_lshlrev_b16_e32 v6, 4, v1
	v_lshl_add_u64 v[6:7], s[10:11], 0, v[6:7]
	global_load_dwordx4 v[152:155], v[4:5], off offset:1920
	global_load_dwordx4 v[156:159], v[6:7], off offset:1920
	ds_read2_b64 v[172:175], v241 offset0:8 offset1:251
	ds_read2_b64 v[184:187], v239 offset0:10 offset1:253
	v_accvgpr_write_b32 a254, v163
	s_waitcnt vmcnt(1)
	v_pk_mul_f32 v[4:5], v[170:171], v[152:153] op_sel:[0,1]
	v_mov_b32_e32 v2, v155
	v_pk_fma_f32 v[166:167], v[170:171], v[152:153], v[4:5] op_sel:[0,0,1] op_sel_hi:[1,1,0] neg_lo:[0,0,1] neg_hi:[0,0,1]
	v_pk_fma_f32 v[182:183], v[170:171], v[152:153], v[4:5] op_sel:[0,0,1] op_sel_hi:[1,0,0]
	s_waitcnt lgkmcnt(1)
	v_pk_mul_f32 v[4:5], v[174:175], v[2:3] op_sel_hi:[1,0]
	s_waitcnt vmcnt(0)
	v_mov_b32_e32 v2, v159
	v_pk_fma_f32 v[170:171], v[174:175], v[154:155], v[4:5] op_sel:[0,0,1] op_sel_hi:[1,1,0] neg_lo:[0,0,1] neg_hi:[0,0,1]
	v_pk_fma_f32 v[194:195], v[174:175], v[154:155], v[4:5] op_sel:[0,0,1] op_sel_hi:[1,0,0]
	v_pk_mul_f32 v[4:5], v[172:173], v[2:3] op_sel_hi:[1,0]
	v_mul_u32_u24_sdwa v2, v218, s3 dst_sel:DWORD dst_unused:UNUSED_PAD src0_sel:WORD_0 src1_sel:DWORD
	v_pk_fma_f32 v[196:197], v[172:173], v[158:159], v[4:5] op_sel:[0,0,1] op_sel_hi:[1,1,0] neg_lo:[0,0,1] neg_hi:[0,0,1]
	v_pk_fma_f32 v[44:45], v[172:173], v[158:159], v[4:5] op_sel:[0,0,1] op_sel_hi:[1,0,0]
	v_sub_u16_sdwa v4, v218, v2 dst_sel:DWORD dst_unused:UNUSED_PAD src0_sel:DWORD src1_sel:WORD_1
	v_lshrrev_b16_e32 v4, 1, v4
	v_add_u16_sdwa v2, v4, v2 dst_sel:DWORD dst_unused:UNUSED_PAD src0_sel:DWORD src1_sel:WORD_1
	v_mul_u32_u24_sdwa v4, v134, s3 dst_sel:DWORD dst_unused:UNUSED_PAD src0_sel:WORD_0 src1_sel:DWORD
	v_sub_u16_sdwa v5, v134, v4 dst_sel:DWORD dst_unused:UNUSED_PAD src0_sel:DWORD src1_sel:WORD_1
	v_lshrrev_b16_e32 v5, 1, v5
	v_add_u16_sdwa v8, v5, v4 dst_sel:DWORD dst_unused:UNUSED_PAD src0_sel:DWORD src1_sel:WORD_1
	v_lshrrev_b16_e32 v2, 7, v2
	s_waitcnt lgkmcnt(0)
	v_pk_mul_f32 v[6:7], v[186:187], v[156:157] op_sel:[0,1]
	v_mul_lo_u16_e32 v2, 0xf3, v2
	v_pk_fma_f32 v[200:201], v[186:187], v[156:157], v[6:7] op_sel:[0,0,1] op_sel_hi:[1,1,0] neg_lo:[0,0,1] neg_hi:[0,0,1]
	v_pk_fma_f32 v[202:203], v[186:187], v[156:157], v[6:7] op_sel:[0,0,1] op_sel_hi:[1,0,0]
	v_lshrrev_b16_e32 v6, 7, v8
	v_sub_u16_e32 v2, v218, v2
	v_mul_lo_u16_e32 v6, 0xf3, v6
	v_lshlrev_b16_e32 v4, 4, v2
	v_mov_b32_e32 v5, v217
	v_sub_u16_e32 v44, v134, v6
	v_lshl_add_u64 v[4:5], s[10:11], 0, v[4:5]
	v_lshlrev_b16_e32 v6, 4, v44
	v_mov_b32_e32 v7, v217
	v_lshl_add_u64 v[6:7], s[10:11], 0, v[6:7]
	global_load_dwordx4 v[176:179], v[4:5], off offset:1920
	global_load_dwordx4 v[172:175], v[6:7], off offset:1920
	ds_read2_b64 v[204:207], v209 offset0:4 offset1:247
	v_accvgpr_write_b32 a220, v155
	v_accvgpr_write_b32 a218, v159
	v_lshlrev_b32_e32 v159, 3, v44
	v_mov_b32_e32 v201, v203
	v_mov_b32_e32 v197, v45
	;; [unrolled: 1-line block ×4, first 2 shown]
	s_waitcnt vmcnt(1)
	v_pk_mul_f32 v[4:5], v[184:185], v[176:177] op_sel:[0,1]
	s_nop 0
	v_pk_fma_f32 v[6:7], v[184:185], v[176:177], v[4:5] op_sel:[0,0,1] op_sel_hi:[1,1,0] neg_lo:[0,0,1] neg_hi:[0,0,1]
	v_pk_fma_f32 v[4:5], v[184:185], v[176:177], v[4:5] op_sel:[0,0,1] op_sel_hi:[1,0,0]
	ds_read2_b64 v[184:187], v242 offset0:2 offset1:245
	v_mov_b32_e32 v4, v179
	s_waitcnt vmcnt(0) lgkmcnt(1)
	v_pk_mul_f32 v[22:23], v[206:207], v[172:173] op_sel:[0,1]
	v_accvgpr_write_b32 a224, v175
	v_pk_fma_f32 v[24:25], v[206:207], v[172:173], v[22:23] op_sel:[0,0,1] op_sel_hi:[1,1,0] neg_lo:[0,0,1] neg_hi:[0,0,1]
	s_waitcnt lgkmcnt(0)
	v_pk_mul_f32 v[8:9], v[186:187], v[4:5] op_sel_hi:[1,0]
	v_mov_b32_e32 v4, v175
	v_pk_mul_f32 v[12:13], v[184:185], v[4:5] op_sel_hi:[1,0]
	v_mul_u32_u24_sdwa v4, v126, s3 dst_sel:DWORD dst_unused:UNUSED_PAD src0_sel:WORD_0 src1_sel:DWORD
	v_sub_u16_sdwa v7, v126, v4 dst_sel:DWORD dst_unused:UNUSED_PAD src0_sel:DWORD src1_sel:WORD_1
	v_lshrrev_b16_e32 v7, 1, v7
	v_pk_fma_f32 v[10:11], v[186:187], v[178:179], v[8:9] op_sel:[0,0,1] op_sel_hi:[1,1,0] neg_lo:[0,0,1] neg_hi:[0,0,1]
	v_pk_fma_f32 v[8:9], v[186:187], v[178:179], v[8:9] op_sel:[0,0,1] op_sel_hi:[1,0,0]
	v_add_u16_sdwa v4, v7, v4 dst_sel:DWORD dst_unused:UNUSED_PAD src0_sel:DWORD src1_sel:WORD_1
	v_mul_u32_u24_sdwa v7, v150, s3 dst_sel:DWORD dst_unused:UNUSED_PAD src0_sel:WORD_0 src1_sel:DWORD
	v_sub_u16_sdwa v8, v150, v7 dst_sel:DWORD dst_unused:UNUSED_PAD src0_sel:DWORD src1_sel:WORD_1
	v_lshrrev_b16_e32 v8, 1, v8
	v_add_u16_sdwa v7, v8, v7 dst_sel:DWORD dst_unused:UNUSED_PAD src0_sel:DWORD src1_sel:WORD_1
	v_lshrrev_b16_e32 v4, 7, v4
	v_mul_lo_u16_e32 v4, 0xf3, v4
	v_lshrrev_b16_e32 v7, 7, v7
	v_sub_u16_e32 v4, v126, v4
	v_mul_lo_u16_e32 v7, 0xf3, v7
	v_lshlrev_b16_e32 v20, 4, v4
	v_sub_u16_e32 v7, v150, v7
	v_lshl_add_u64 v[20:21], s[10:11], 0, v[20:21]
	v_lshlrev_b16_e32 v26, 4, v7
	v_pk_fma_f32 v[14:15], v[184:185], v[174:175], v[12:13] op_sel:[0,0,1] op_sel_hi:[1,1,0] neg_lo:[0,0,1] neg_hi:[0,0,1]
	v_pk_fma_f32 v[12:13], v[184:185], v[174:175], v[12:13] op_sel:[0,0,1] op_sel_hi:[1,0,0]
	v_lshl_add_u64 v[26:27], s[10:11], 0, v[26:27]
	global_load_dwordx4 v[188:191], v[20:21], off offset:1920
	global_load_dwordx4 v[184:187], v[26:27], off offset:1920
	v_pk_fma_f32 v[22:23], v[206:207], v[172:173], v[22:23] op_sel:[0,0,1] op_sel_hi:[1,0,0]
	v_lshlrev_b32_e32 v139, 3, v7
	v_add_u32_e32 v7, 0x2d80, v139
	v_mov_b32_e32 v25, v23
	v_mov_b32_e32 v15, v13
	v_lshlrev_b32_e32 v155, 3, v4
	v_pk_add_f32 v[12:13], v[24:25], v[14:15]
	v_pk_add_f32 v[22:23], v[24:25], v[14:15] neg_lo:[0,1] neg_hi:[0,1]
	v_add_u32_e32 v4, 0x4400, v155
	v_pk_mul_f32 v[22:23], v[22:23], s[2:3] op_sel_hi:[1,0]
	v_accvgpr_write_b32 a137, v7
	v_accvgpr_write_b32 a139, v4
	v_mov_b32_e32 v11, v9
	v_lshlrev_b32_e32 v175, 3, v2
	v_add_u32_e32 v2, 0x71c0, v175
	v_accvgpr_write_b32 a222, v179
	v_lshlrev_b32_e32 v179, 3, v1
	v_add_u32_e32 v1, 0x8880, v179
	v_accvgpr_write_b32 a149, v1
	v_accvgpr_write_b32 a145, v2
	s_waitcnt vmcnt(1)
	v_pk_mul_f32 v[20:21], v[204:205], v[188:189] op_sel:[0,1]
	s_nop 0
	v_pk_fma_f32 v[26:27], v[204:205], v[188:189], v[20:21] op_sel:[0,0,1] op_sel_hi:[1,1,0] neg_lo:[0,0,1] neg_hi:[0,0,1]
	v_pk_fma_f32 v[20:21], v[204:205], v[188:189], v[20:21] op_sel:[0,0,1] op_sel_hi:[1,0,0]
	ds_read2_b64 v[204:207], v246 offset0:6 offset1:249
	v_mov_b32_e32 v8, v191
	v_mov_b32_e32 v27, v21
	s_waitcnt vmcnt(0)
	v_accvgpr_write_b32 a228, v187
	v_accvgpr_write_b32 a230, v191
	s_waitcnt lgkmcnt(0)
	v_pk_mul_f32 v[28:29], v[204:205], v[136:137] op_sel:[0,1]
	v_pk_mul_f32 v[32:33], v[206:207], v[184:185] op_sel:[0,1]
	v_pk_fma_f32 v[30:31], v[204:205], v[136:137], v[28:29] op_sel:[0,0,1] op_sel_hi:[1,1,0] neg_lo:[0,0,1] neg_hi:[0,0,1]
	v_pk_fma_f32 v[28:29], v[204:205], v[136:137], v[28:29] op_sel:[0,0,1] op_sel_hi:[1,0,0]
	v_pk_fma_f32 v[34:35], v[206:207], v[184:185], v[32:33] op_sel:[0,0,1] op_sel_hi:[1,1,0] neg_lo:[0,0,1] neg_hi:[0,0,1]
	v_pk_fma_f32 v[32:33], v[206:207], v[184:185], v[32:33] op_sel:[0,0,1] op_sel_hi:[1,0,0]
	ds_read2_b64 v[204:207], v240 offset0:12 offset1:255
	v_mov_b32_e32 v31, v29
	v_pk_add_f32 v[28:29], v[30:31], v[164:165]
	v_mov_b32_e32 v35, v33
	s_waitcnt lgkmcnt(0)
	v_pk_mul_f32 v[36:37], v[206:207], v[8:9] op_sel_hi:[1,0]
	v_mov_b32_e32 v8, v187
	v_pk_mul_f32 v[40:41], v[204:205], v[8:9] op_sel_hi:[1,0]
	v_pk_fma_f32 v[38:39], v[206:207], v[190:191], v[36:37] op_sel:[0,0,1] op_sel_hi:[1,1,0] neg_lo:[0,0,1] neg_hi:[0,0,1]
	v_pk_fma_f32 v[36:37], v[206:207], v[190:191], v[36:37] op_sel:[0,0,1] op_sel_hi:[1,0,0]
	v_pk_fma_f32 v[42:43], v[204:205], v[186:187], v[40:41] op_sel:[0,0,1] op_sel_hi:[1,1,0] neg_lo:[0,0,1] neg_hi:[0,0,1]
	v_pk_fma_f32 v[40:41], v[204:205], v[186:187], v[40:41] op_sel:[0,0,1] op_sel_hi:[1,0,0]
	ds_read2_b64 v[204:207], v238 offset0:8 offset1:251
	v_mov_b32_e32 v43, v41
	v_mov_b32_e32 v39, v37
	v_pk_add_f32 v[20:21], v[26:27], v[38:39]
	v_lshlrev_b32_e32 v187, 3, v46
	s_waitcnt lgkmcnt(0)
	v_pk_mul_f32 v[210:211], v[206:207], v[136:137] op_sel:[0,1]
	s_nop 0
	v_pk_fma_f32 v[214:215], v[206:207], v[136:137], v[210:211] op_sel:[0,0,1] op_sel_hi:[1,1,0] neg_lo:[0,0,1] neg_hi:[0,0,1]
	v_pk_fma_f32 v[206:207], v[206:207], v[136:137], v[210:211] op_sel:[0,0,1] op_sel_hi:[1,0,0]
	ds_read2_b64 v[210:213], v216 offset1:243
	v_mov_b32_e32 v215, v207
	v_pk_add_f32 v[206:207], v[214:215], v[180:181]
	s_waitcnt lgkmcnt(0)
	v_pk_add_f32 v[192:193], v[210:211], v[214:215]
	s_nop 0
	v_pk_add_f32 v[192:193], v[192:193], v[180:181]
	v_pk_add_f32 v[180:181], v[214:215], v[180:181] neg_lo:[0,1] neg_hi:[0,1]
	v_pk_fma_f32 v[206:207], v[206:207], 0.5, v[210:211] op_sel_hi:[1,0,1] neg_lo:[1,0,0] neg_hi:[1,0,0]
	v_pk_mul_f32 v[180:181], v[180:181], s[2:3] op_sel_hi:[1,0]
	v_pk_add_f32 v[168:169], v[212:213], v[30:31]
	v_pk_add_f32 v[210:211], v[206:207], v[180:181] op_sel:[0,1] op_sel_hi:[1,0]
	v_pk_add_f32 v[180:181], v[206:207], v[180:181] op_sel:[0,1] op_sel_hi:[1,0] neg_lo:[0,1] neg_hi:[0,1]
	ds_read_b64 v[206:207], v216 offset:50544
	ds_read2_b64 v[220:223], v198 offset0:2 offset1:245
	ds_read2_b64 v[228:231], v149 offset0:12 offset1:255
	;; [unrolled: 1-line block ×3, first 2 shown]
	v_pk_add_f32 v[30:31], v[30:31], v[164:165] neg_lo:[0,1] neg_hi:[0,1]
	v_pk_fma_f32 v[28:29], v[28:29], 0.5, v[212:213] op_sel_hi:[1,0,1] neg_lo:[1,0,0] neg_hi:[1,0,0]
	v_pk_mul_f32 v[30:31], v[30:31], s[2:3] op_sel_hi:[1,0]
	v_pk_add_f32 v[168:169], v[168:169], v[164:165]
	v_pk_add_f32 v[164:165], v[28:29], v[30:31] op_sel:[0,1] op_sel_hi:[1,0] neg_lo:[0,1] neg_hi:[0,1]
	v_pk_add_f32 v[28:29], v[28:29], v[30:31] op_sel:[0,1] op_sel_hi:[1,0]
	v_mov_b32_e32 v214, v210
	v_mov_b32_e32 v215, v181
	;; [unrolled: 1-line block ×6, first 2 shown]
	s_waitcnt lgkmcnt(0)
	s_barrier
	ds_write2_b64 v216, v[192:193], v[214:215] offset1:243
	ds_write2_b64 v208, v[180:181], v[168:169] offset0:6 offset1:249
	ds_write2_b64 v149, v[30:31], v[164:165] offset0:12 offset1:255
	v_pk_add_f32 v[28:29], v[34:35], v[42:43]
	v_pk_add_f32 v[30:31], v[34:35], v[42:43] neg_lo:[0,1] neg_hi:[0,1]
	v_pk_fma_f32 v[28:29], v[28:29], 0.5, v[234:235] op_sel_hi:[1,0,1] neg_lo:[1,0,0] neg_hi:[1,0,0]
	v_pk_mul_f32 v[30:31], v[30:31], s[2:3] op_sel_hi:[1,0]
	v_pk_fma_f32 v[20:21], v[20:21], 0.5, v[236:237] op_sel_hi:[1,0,1] neg_lo:[1,0,0] neg_hi:[1,0,0]
	v_pk_add_f32 v[32:33], v[28:29], v[30:31] op_sel:[0,1] op_sel_hi:[1,0] neg_lo:[0,1] neg_hi:[0,1]
	v_pk_add_f32 v[28:29], v[28:29], v[30:31] op_sel:[0,1] op_sel_hi:[1,0]
	v_pk_add_f32 v[30:31], v[234:235], v[34:35]
	v_mov_b32_e32 v34, v28
	v_pk_add_f32 v[30:31], v[30:31], v[42:43]
	v_mov_b32_e32 v35, v33
	ds_write2_b64 v7, v[30:31], v[34:35] offset0:2 offset1:245
	v_pk_add_f32 v[30:31], v[236:237], v[26:27]
	v_pk_add_f32 v[26:27], v[26:27], v[38:39] neg_lo:[0,1] neg_hi:[0,1]
	v_pk_fma_f32 v[12:13], v[12:13], 0.5, v[228:229] op_sel_hi:[1,0,1] neg_lo:[1,0,0] neg_hi:[1,0,0]
	v_pk_mul_f32 v[26:27], v[26:27], s[2:3] op_sel_hi:[1,0]
	v_mov_b32_e32 v7, v5
	v_pk_add_f32 v[34:35], v[20:21], v[26:27] op_sel:[0,1] op_sel_hi:[1,0] neg_lo:[0,1] neg_hi:[0,1]
	v_pk_add_f32 v[20:21], v[20:21], v[26:27] op_sel:[0,1] op_sel_hi:[1,0]
	v_pk_add_f32 v[26:27], v[30:31], v[38:39]
	v_mov_b32_e32 v30, v20
	v_mov_b32_e32 v31, v35
	ds_write2_b64 v4, v[26:27], v[30:31] offset0:11 offset1:254
	v_pk_add_f32 v[26:27], v[12:13], v[22:23] op_sel:[0,1] op_sel_hi:[1,0] neg_lo:[0,1] neg_hi:[0,1]
	v_pk_add_f32 v[12:13], v[12:13], v[22:23] op_sel:[0,1] op_sel_hi:[1,0]
	v_pk_add_f32 v[22:23], v[228:229], v[24:25]
	v_add_u32_e32 v4, 0x5b00, v159
	v_pk_add_f32 v[14:15], v[22:23], v[14:15]
	v_mov_b32_e32 v22, v12
	v_mov_b32_e32 v23, v27
	ds_write2_b64 v4, v[14:15], v[22:23] offset0:4 offset1:247
	v_accvgpr_write_b32 a143, v4
	v_pk_add_f32 v[4:5], v[6:7], v[10:11]
	v_pk_add_f32 v[8:9], v[230:231], v[6:7]
	v_pk_add_f32 v[6:7], v[6:7], v[10:11] neg_lo:[0,1] neg_hi:[0,1]
	v_pk_fma_f32 v[4:5], v[4:5], 0.5, v[230:231] op_sel_hi:[1,0,1] neg_lo:[1,0,0] neg_hi:[1,0,0]
	v_pk_mul_f32 v[6:7], v[6:7], s[2:3] op_sel_hi:[1,0]
	v_pk_add_f32 v[24:25], v[166:167], v[170:171] neg_lo:[0,1] neg_hi:[0,1]
	v_pk_add_f32 v[14:15], v[4:5], v[6:7] op_sel:[0,1] op_sel_hi:[1,0] neg_lo:[0,1] neg_hi:[0,1]
	v_pk_add_f32 v[4:5], v[4:5], v[6:7] op_sel:[0,1] op_sel_hi:[1,0]
	v_pk_add_f32 v[6:7], v[8:9], v[10:11]
	v_mov_b32_e32 v8, v4
	v_mov_b32_e32 v9, v15
	ds_write2_b64 v2, v[6:7], v[8:9] offset0:5 offset1:248
	v_pk_add_f32 v[6:7], v[200:201], v[196:197]
	v_pk_add_f32 v[8:9], v[200:201], v[196:197] neg_lo:[0,1] neg_hi:[0,1]
	v_pk_fma_f32 v[6:7], v[6:7], 0.5, v[220:221] op_sel_hi:[1,0,1] neg_lo:[1,0,0] neg_hi:[1,0,0]
	v_pk_mul_f32 v[8:9], v[8:9], s[2:3] op_sel_hi:[1,0]
	v_pk_mul_f32 v[24:25], v[24:25], s[2:3] op_sel_hi:[1,0]
	v_pk_add_f32 v[10:11], v[6:7], v[8:9] op_sel:[0,1] op_sel_hi:[1,0] neg_lo:[0,1] neg_hi:[0,1]
	v_pk_add_f32 v[6:7], v[6:7], v[8:9] op_sel:[0,1] op_sel_hi:[1,0]
	v_pk_add_f32 v[8:9], v[220:221], v[200:201]
	v_mov_b32_e32 v22, v6
	v_pk_add_f32 v[8:9], v[8:9], v[196:197]
	v_mov_b32_e32 v23, v11
	ds_write2_b64 v1, v[8:9], v[22:23] offset0:6 offset1:249
	v_pk_add_f32 v[8:9], v[166:167], v[170:171]
	v_pk_add_f32 v[22:23], v[222:223], v[166:167]
	v_pk_fma_f32 v[8:9], v[8:9], 0.5, v[222:223] op_sel_hi:[1,0,1] neg_lo:[1,0,0] neg_hi:[1,0,0]
	v_pk_add_f32 v[22:23], v[22:23], v[170:171]
	v_pk_add_f32 v[30:31], v[8:9], v[24:25] op_sel:[0,1] op_sel_hi:[1,0] neg_lo:[0,1] neg_hi:[0,1]
	v_pk_add_f32 v[8:9], v[8:9], v[24:25] op_sel:[0,1] op_sel_hi:[1,0]
	v_mov_b32_e32 v25, v31
	v_mov_b32_e32 v24, v8
	v_add_u32_e32 v1, 0x9f40, v187
	v_mov_b32_e32 v4, v163
	ds_write2_b64 v1, v[22:23], v[24:25] offset0:7 offset1:250
	v_accvgpr_write_b32 a151, v1
	v_mov_b32_e32 v1, v3
	v_pk_mul_f32 v[2:3], v[206:207], v[4:5] op_sel_hi:[1,0]
	v_pk_add_f32 v[24:25], v[204:205], v[0:1]
	v_pk_fma_f32 v[22:23], v[206:207], v[162:163], v[2:3] op_sel:[0,0,1] op_sel_hi:[1,1,0] neg_lo:[0,0,1] neg_hi:[0,0,1]
	v_pk_fma_f32 v[2:3], v[206:207], v[162:163], v[2:3] op_sel:[0,0,1] op_sel_hi:[1,0,0]
	v_lshlrev_b32_e32 v163, 3, v19
	v_mov_b32_e32 v23, v3
	v_pk_add_f32 v[2:3], v[0:1], v[22:23]
	v_pk_add_f32 v[0:1], v[0:1], v[22:23] neg_lo:[0,1] neg_hi:[0,1]
	v_pk_fma_f32 v[2:3], v[2:3], 0.5, v[204:205] op_sel_hi:[1,0,1] neg_lo:[1,0,0] neg_hi:[1,0,0]
	v_pk_mul_f32 v[0:1], v[0:1], s[2:3] op_sel_hi:[1,0]
	s_movk_i32 s3, 0x6799
	v_pk_add_f32 v[36:37], v[2:3], v[0:1] op_sel:[0,1] op_sel_hi:[1,0] neg_lo:[0,1] neg_hi:[0,1]
	v_pk_add_f32 v[0:1], v[2:3], v[0:1] op_sel:[0,1] op_sel_hi:[1,0]
	v_pk_add_f32 v[2:3], v[24:25], v[22:23]
	v_mov_b32_e32 v22, v0
	v_mul_u32_u24_sdwa v0, v224, s3 dst_sel:DWORD dst_unused:UNUSED_PAD src0_sel:WORD_0 src1_sel:DWORD
	v_mov_b32_e32 v23, v37
	v_mov_b32_e32 v37, v1
	v_sub_u16_sdwa v1, v224, v0 dst_sel:DWORD dst_unused:UNUSED_PAD src0_sel:DWORD src1_sel:WORD_1
	v_lshrrev_b16_e32 v1, 1, v1
	v_add_u16_sdwa v0, v1, v0 dst_sel:DWORD dst_unused:UNUSED_PAD src0_sel:DWORD src1_sel:WORD_1
	v_lshrrev_b16_e32 v0, 9, v0
	v_mul_lo_u16_e32 v0, 0x2d9, v0
	v_sub_u16_e32 v48, v224, v0
	v_lshlrev_b16_e32 v0, 4, v48
	v_mov_b32_e32 v1, v217
	v_add_u32_e32 v191, 0xb600, v163
	v_lshl_add_u64 v[0:1], s[10:11], 0, v[0:1]
	ds_write2_b64 v191, v[2:3], v[22:23] offset0:8 offset1:251
	v_add_co_u32_e32 v0, vcc, s7, v0
	v_lshlrev_b32_e32 v2, 4, v148
	v_mov_b32_e32 v3, v217
	v_addc_co_u32_e32 v1, vcc, 0, v1, vcc
	v_lshl_add_u64 v[200:201], s[10:11], 0, v[2:3]
	v_add_co_u32_e32 v4, vcc, s7, v200
	v_lshlrev_b32_e32 v2, 4, v150
	v_mov_b32_e32 v15, v5
	v_addc_co_u32_e32 v5, vcc, 0, v201, vcc
	v_lshl_add_u64 v[210:211], s[10:11], 0, v[2:3]
	v_add_co_u32_e32 v2, vcc, s7, v210
	v_mov_b32_e32 v33, v29
	v_mov_b32_e32 v35, v21
	;; [unrolled: 1-line block ×5, first 2 shown]
	v_addc_co_u32_e32 v3, vcc, 0, v211, vcc
	ds_write_b64 v139, v[32:33] offset:15552
	ds_write_b64 v155, v[34:35] offset:21384
	;; [unrolled: 1-line block ×7, first 2 shown]
	s_waitcnt lgkmcnt(0)
	s_barrier
	global_load_dwordx4 v[148:151], v[2:3], off offset:1712
	global_load_dwordx4 v[168:171], v[0:1], off offset:1712
	ds_read2_b64 v[192:195], v246 offset0:6 offset1:249
	v_mov_b32_e32 v19, v217
	v_mov_b32_e32 v23, v217
	s_waitcnt vmcnt(1) lgkmcnt(0)
	v_pk_mul_f32 v[0:1], v[194:195], v[148:149] op_sel:[0,1]
	s_nop 0
	v_pk_fma_f32 v[202:203], v[194:195], v[148:149], v[0:1] op_sel:[0,0,1] op_sel_hi:[1,1,0] neg_lo:[0,0,1] neg_hi:[0,0,1]
	v_pk_fma_f32 v[44:45], v[194:195], v[148:149], v[0:1] op_sel:[0,0,1] op_sel_hi:[1,0,0]
	v_lshl_add_u64 v[0:1], s[10:11], 0, v[18:19]
	v_add_co_u32_e32 v6, vcc, s7, v0
	v_mov_b32_e32 v203, v45
	s_nop 0
	v_addc_co_u32_e32 v7, vcc, 0, v1, vcc
	global_load_dwordx4 v[180:183], v[4:5], off offset:1712
	global_load_dwordx4 v[164:167], v[6:7], off offset:1712
	v_accvgpr_write_b32 a236, v151
	s_waitcnt vmcnt(2)
	v_accvgpr_write_b32 a238, v171
	s_waitcnt vmcnt(1)
	v_pk_mul_f32 v[4:5], v[192:193], v[180:181] op_sel:[0,1]
	s_nop 0
	v_pk_fma_f32 v[6:7], v[192:193], v[180:181], v[4:5] op_sel:[0,0,1] op_sel_hi:[1,1,0] neg_lo:[0,0,1] neg_hi:[0,0,1]
	v_pk_fma_f32 v[230:231], v[192:193], v[180:181], v[4:5] op_sel:[0,0,1] op_sel_hi:[1,0,0]
	ds_read2_b64 v[192:195], v199 offset0:6 offset1:249
	s_waitcnt vmcnt(0)
	v_mov_b32_e32 v2, v167
	v_mov_b32_e32 v4, v183
	;; [unrolled: 1-line block ×4, first 2 shown]
	s_waitcnt lgkmcnt(0)
	v_pk_mul_f32 v[8:9], v[192:193], v[2:3] op_sel_hi:[1,0]
	v_mov_b32_e32 v2, v183
	v_pk_mul_f32 v[14:15], v[194:195], v[2:3] op_sel_hi:[1,0]
	v_mul_u32_u24_sdwa v2, v226, s3 dst_sel:DWORD dst_unused:UNUSED_PAD src0_sel:WORD_0 src1_sel:DWORD
	v_sub_u16_sdwa v3, v226, v2 dst_sel:DWORD dst_unused:UNUSED_PAD src0_sel:DWORD src1_sel:WORD_1
	v_lshrrev_b16_e32 v3, 1, v3
	v_add_u16_sdwa v2, v3, v2 dst_sel:DWORD dst_unused:UNUSED_PAD src0_sel:DWORD src1_sel:WORD_1
	v_lshrrev_b16_e32 v2, 9, v2
	v_mul_lo_u16_e32 v2, 0x2d9, v2
	v_sub_u16_e32 v49, v226, v2
	v_mul_u32_u24_sdwa v2, v232, s3 dst_sel:DWORD dst_unused:UNUSED_PAD src0_sel:WORD_0 src1_sel:DWORD
	v_sub_u16_sdwa v3, v232, v2 dst_sel:DWORD dst_unused:UNUSED_PAD src0_sel:DWORD src1_sel:WORD_1
	v_lshrrev_b16_e32 v3, 1, v3
	v_add_u16_sdwa v2, v3, v2 dst_sel:DWORD dst_unused:UNUSED_PAD src0_sel:DWORD src1_sel:WORD_1
	v_lshrrev_b16_e32 v2, 9, v2
	v_lshlrev_b16_e32 v18, 4, v49
	v_mul_lo_u16_e32 v2, 0x2d9, v2
	v_lshl_add_u64 v[18:19], s[10:11], 0, v[18:19]
	v_sub_u16_e32 v50, v232, v2
	v_add_co_u32_e32 v18, vcc, s7, v18
	v_lshlrev_b16_e32 v22, 4, v50
	s_nop 0
	v_addc_co_u32_e32 v19, vcc, 0, v19, vcc
	v_lshl_add_u64 v[22:23], s[10:11], 0, v[22:23]
	v_add_co_u32_e32 v22, vcc, s7, v22
	v_pk_fma_f32 v[12:13], v[192:193], v[166:167], v[8:9] op_sel:[0,0,1] op_sel_hi:[1,1,0] neg_lo:[0,0,1] neg_hi:[0,0,1]
	s_nop 0
	v_addc_co_u32_e32 v23, vcc, 0, v23, vcc
	v_pk_fma_f32 v[234:235], v[192:193], v[166:167], v[8:9] op_sel:[0,0,1] op_sel_hi:[1,0,0]
	v_pk_fma_f32 v[20:21], v[194:195], v[182:183], v[14:15] op_sel:[0,0,1] op_sel_hi:[1,1,0] neg_lo:[0,0,1] neg_hi:[0,0,1]
	v_pk_fma_f32 v[236:237], v[194:195], v[182:183], v[14:15] op_sel:[0,0,1] op_sel_hi:[1,0,0]
	global_load_dwordx4 v[60:63], v[22:23], off offset:1712
	global_load_dwordx4 v[192:195], v[18:19], off offset:1712
	ds_read2_b64 v[212:215], v127 offset1:243
	ds_read2_b64 v[220:223], v241 offset0:8 offset1:251
	v_mov_b32_e32 v8, v151
	v_mov_b32_e32 v167, v209
	;; [unrolled: 1-line block ×4, first 2 shown]
	v_pk_add_f32 v[234:235], v[6:7], v[20:21]
	v_accvgpr_write_b32 a234, v44
	v_add_co_u32_e32 v0, vcc, s6, v0
	v_accvgpr_write_b32 a232, v183
	s_nop 0
	v_addc_co_u32_e32 v1, vcc, 0, v1, vcc
	v_lshlrev_b32_e32 v232, 4, v232
	v_lshl_add_u64 v[232:233], s[10:11], 0, v[232:233]
	s_waitcnt vmcnt(1) lgkmcnt(1)
	v_pk_mul_f32 v[18:19], v[214:215], v[60:61] op_sel:[0,1]
	s_waitcnt vmcnt(0)
	v_mov_b32_e32 v2, v195
	s_waitcnt lgkmcnt(0)
	v_pk_mul_f32 v[24:25], v[222:223], v[2:3] op_sel_hi:[1,0]
	v_mov_b32_e32 v2, v171
	v_pk_fma_f32 v[204:205], v[214:215], v[60:61], v[18:19] op_sel:[0,0,1] op_sel_hi:[1,1,0] neg_lo:[0,0,1] neg_hi:[0,0,1]
	v_pk_fma_f32 v[22:23], v[214:215], v[60:61], v[18:19] op_sel:[0,0,1] op_sel_hi:[1,0,0]
	v_pk_mul_f32 v[18:19], v[212:213], v[192:193] op_sel:[0,1]
	v_pk_mul_f32 v[26:27], v[220:221], v[2:3] op_sel_hi:[1,0]
	v_pk_fma_f32 v[206:207], v[212:213], v[192:193], v[18:19] op_sel:[0,0,1] op_sel_hi:[1,1,0] neg_lo:[0,0,1] neg_hi:[0,0,1]
	v_pk_fma_f32 v[18:19], v[212:213], v[192:193], v[18:19] op_sel:[0,0,1] op_sel_hi:[1,0,0]
	v_pk_fma_f32 v[212:213], v[222:223], v[194:195], v[24:25] op_sel:[0,0,1] op_sel_hi:[1,1,0] neg_lo:[0,0,1] neg_hi:[0,0,1]
	v_pk_fma_f32 v[24:25], v[222:223], v[194:195], v[24:25] op_sel:[0,0,1] op_sel_hi:[1,0,0]
	;; [unrolled: 2-line block ×3, first 2 shown]
	ds_read2_b64 v[220:223], v239 offset0:10 offset1:253
	v_mov_b32_e32 v2, v151
	v_accvgpr_write_b32 a240, v195
	v_mov_b32_e32 v195, v240
	v_mov_b32_e32 v205, v23
	s_waitcnt lgkmcnt(0)
	v_pk_mul_f32 v[30:31], v[222:223], v[168:169] op_sel:[0,1]
	v_pk_mul_f32 v[34:35], v[220:221], v[148:149] op_sel:[0,1]
	v_pk_fma_f32 v[32:33], v[222:223], v[168:169], v[30:31] op_sel:[0,0,1] op_sel_hi:[1,1,0] neg_lo:[0,0,1] neg_hi:[0,0,1]
	v_pk_fma_f32 v[30:31], v[222:223], v[168:169], v[30:31] op_sel:[0,0,1] op_sel_hi:[1,0,0]
	v_pk_fma_f32 v[36:37], v[220:221], v[148:149], v[34:35] op_sel:[0,0,1] op_sel_hi:[1,1,0] neg_lo:[0,0,1] neg_hi:[0,0,1]
	v_pk_fma_f32 v[34:35], v[220:221], v[148:149], v[34:35] op_sel:[0,0,1] op_sel_hi:[1,0,0]
	ds_read2_b64 v[220:223], v242 offset0:2 offset1:245
	v_mov_b32_e32 v34, v242
	v_mov_b32_e32 v37, v35
	;; [unrolled: 1-line block ×4, first 2 shown]
	s_waitcnt lgkmcnt(0)
	v_pk_mul_f32 v[38:39], v[222:223], v[2:3] op_sel_hi:[1,0]
	v_pk_mul_f32 v[42:43], v[220:221], v[4:5] op_sel_hi:[1,0]
	v_pk_fma_f32 v[40:41], v[222:223], v[150:151], v[38:39] op_sel:[0,0,1] op_sel_hi:[1,1,0] neg_lo:[0,0,1] neg_hi:[0,0,1]
	v_pk_fma_f32 v[38:39], v[222:223], v[150:151], v[38:39] op_sel:[0,0,1] op_sel_hi:[1,0,0]
	v_pk_fma_f32 v[214:215], v[220:221], v[182:183], v[42:43] op_sel:[0,0,1] op_sel_hi:[1,1,0] neg_lo:[0,0,1] neg_hi:[0,0,1]
	v_pk_fma_f32 v[42:43], v[220:221], v[182:183], v[42:43] op_sel:[0,0,1] op_sel_hi:[1,0,0]
	ds_read2_b64 v[220:223], v209 offset0:4 offset1:247
	v_mov_b32_e32 v215, v43
	v_mov_b32_e32 v41, v39
	v_mov_b32_e32 v33, v31
	v_mov_b32_e32 v29, v27
	s_waitcnt lgkmcnt(0)
	v_pk_mul_f32 v[228:229], v[222:223], v[180:181] op_sel:[0,1]
	v_pk_add_f32 v[22:23], v[32:33], v[28:29] neg_lo:[0,1] neg_hi:[0,1]
	v_pk_fma_f32 v[10:11], v[222:223], v[180:181], v[228:229] op_sel:[0,0,1] op_sel_hi:[1,1,0] neg_lo:[0,0,1] neg_hi:[0,0,1]
	v_pk_fma_f32 v[2:3], v[222:223], v[180:181], v[228:229] op_sel:[0,0,1] op_sel_hi:[1,0,0]
	v_pk_mul_f32 v[222:223], v[220:221], v[164:165] op_sel:[0,1]
	v_mov_b32_e32 v11, v3
	v_pk_fma_f32 v[46:47], v[220:221], v[164:165], v[222:223] op_sel:[0,0,1] op_sel_hi:[1,1,0] neg_lo:[0,0,1] neg_hi:[0,0,1]
	v_pk_fma_f32 v[4:5], v[220:221], v[164:165], v[222:223] op_sel:[0,0,1] op_sel_hi:[1,0,0]
	ds_read2_b64 v[220:223], v240 offset0:12 offset1:255
	v_mov_b32_e32 v47, v5
	v_pk_add_f32 v[2:3], v[10:11], v[214:215]
	v_pk_mul_f32 v[22:23], v[22:23], s[2:3] op_sel_hi:[1,0]
	v_lshlrev_b32_e32 v183, 3, v49
	s_waitcnt lgkmcnt(0)
	v_pk_mul_f32 v[228:229], v[220:221], v[8:9] op_sel_hi:[1,0]
	v_lshlrev_b32_e32 v171, 3, v50
	v_pk_fma_f32 v[8:9], v[220:221], v[150:151], v[228:229] op_sel:[0,0,1] op_sel_hi:[1,1,0] neg_lo:[0,0,1] neg_hi:[0,0,1]
	v_pk_fma_f32 v[14:15], v[220:221], v[150:151], v[228:229] op_sel:[0,0,1] op_sel_hi:[1,0,0]
	v_pk_mul_f32 v[220:221], v[222:223], v[44:45] op_sel_hi:[1,0]
	v_mov_b32_e32 v9, v15
	v_pk_fma_f32 v[244:245], v[222:223], v[166:167], v[220:221] op_sel:[0,0,1] op_sel_hi:[1,1,0] neg_lo:[0,0,1] neg_hi:[0,0,1]
	v_pk_fma_f32 v[242:243], v[222:223], v[166:167], v[220:221] op_sel:[0,0,1] op_sel_hi:[1,0,0]
	ds_read2_b64 v[220:223], v238 offset0:8 offset1:251
	v_pk_add_f32 v[14:15], v[202:203], v[8:9] neg_lo:[0,1] neg_hi:[0,1]
	v_mov_b32_e32 v245, v243
	v_pk_mul_f32 v[14:15], v[14:15], s[2:3] op_sel_hi:[1,0]
	v_pk_add_f32 v[4:5], v[46:47], v[244:245]
	s_waitcnt lgkmcnt(0)
	v_pk_mul_f32 v[228:229], v[222:223], v[164:165] op_sel:[0,1]
	v_lshlrev_b32_e32 v151, 3, v48
	v_pk_fma_f32 v[248:249], v[222:223], v[164:165], v[228:229] op_sel:[0,0,1] op_sel_hi:[1,1,0] neg_lo:[0,0,1] neg_hi:[0,0,1]
	v_pk_fma_f32 v[222:223], v[222:223], v[164:165], v[228:229] op_sel:[0,0,1] op_sel_hi:[1,0,0]
	ds_read2_b64 v[228:231], v216 offset1:243
	v_mov_b32_e32 v249, v223
	v_pk_add_f32 v[222:223], v[248:249], v[12:13]
	v_lshlrev_b32_e32 v26, 4, v218
	v_mov_b32_e32 v27, v217
	s_waitcnt lgkmcnt(0)
	v_pk_fma_f32 v[222:223], v[222:223], 0.5, v[228:229] op_sel_hi:[1,0,1] neg_lo:[1,0,0] neg_hi:[1,0,0]
	v_pk_add_f32 v[228:229], v[228:229], v[248:249]
	v_pk_fma_f32 v[240:241], v[234:235], 0.5, v[230:231] op_sel_hi:[1,0,1] neg_lo:[1,0,0] neg_hi:[1,0,0]
	v_pk_add_f32 v[254:255], v[228:229], v[12:13]
	v_pk_add_f32 v[12:13], v[248:249], v[12:13] neg_lo:[0,1] neg_hi:[0,1]
	v_pk_add_f32 v[238:239], v[230:231], v[6:7]
	v_pk_mul_f32 v[12:13], v[12:13], s[2:3] op_sel_hi:[1,0]
	ds_read_b64 v[132:133], v216 offset:50544
	ds_read2_b64 v[228:231], v208 offset0:6 offset1:249
	ds_read2_b64 v[234:237], v198 offset0:2 offset1:245
	;; [unrolled: 1-line block ×3, first 2 shown]
	v_pk_add_f32 v[252:253], v[222:223], v[12:13] op_sel:[0,1] op_sel_hi:[1,0]
	v_pk_add_f32 v[12:13], v[222:223], v[12:13] op_sel:[0,1] op_sel_hi:[1,0] neg_lo:[0,1] neg_hi:[0,1]
	s_waitcnt lgkmcnt(0)
	v_mov_b32_e32 v223, v13
	v_mov_b32_e32 v13, v253
	s_barrier
	v_mov_b32_e32 v222, v252
	ds_write_b64 v216, v[12:13] offset:11664
	v_pk_add_f32 v[12:13], v[238:239], v[20:21]
	ds_write_b64 v216, v[222:223] offset:5832
	ds_write2_b64 v216, v[254:255], v[12:13] offset1:243
	v_pk_add_f32 v[12:13], v[202:203], v[8:9]
	v_pk_add_f32 v[6:7], v[6:7], v[20:21] neg_lo:[0,1] neg_hi:[0,1]
	v_pk_fma_f32 v[12:13], v[12:13], 0.5, v[228:229] op_sel_hi:[1,0,1] neg_lo:[1,0,0] neg_hi:[1,0,0]
	v_pk_mul_f32 v[6:7], v[6:7], s[2:3] op_sel_hi:[1,0]
	v_pk_add_f32 v[44:45], v[12:13], v[14:15] op_sel:[0,1] op_sel_hi:[1,0]
	v_pk_add_f32 v[12:13], v[12:13], v[14:15] op_sel:[0,1] op_sel_hi:[1,0] neg_lo:[0,1] neg_hi:[0,1]
	v_pk_add_f32 v[14:15], v[240:241], v[6:7] op_sel:[0,1] op_sel_hi:[1,0]
	v_pk_add_f32 v[6:7], v[240:241], v[6:7] op_sel:[0,1] op_sel_hi:[1,0] neg_lo:[0,1] neg_hi:[0,1]
	v_pk_add_f32 v[20:21], v[228:229], v[202:203]
	v_pk_fma_f32 v[2:3], v[2:3], 0.5, v[248:249] op_sel_hi:[1,0,1] neg_lo:[1,0,0] neg_hi:[1,0,0]
	v_pk_add_f32 v[8:9], v[20:21], v[8:9]
	v_mov_b32_e32 v21, v7
	v_mov_b32_e32 v7, v15
	;; [unrolled: 1-line block ×3, first 2 shown]
	ds_write_b64 v216, v[6:7] offset:13608
	ds_write_b64 v216, v[8:9] offset:3888
	v_mov_b32_e32 v6, v44
	v_mov_b32_e32 v7, v13
	ds_write2_b64 v107, v[20:21], v[6:7] offset0:12 offset1:255
	v_pk_add_f32 v[6:7], v[230:231], v[46:47]
	v_mov_b32_e32 v13, v45
	v_pk_add_f32 v[6:7], v[6:7], v[244:245]
	ds_write2_b64 v115, v[12:13], v[6:7] offset0:8 offset1:251
	v_pk_add_f32 v[6:7], v[10:11], v[214:215] neg_lo:[0,1] neg_hi:[0,1]
	v_pk_fma_f32 v[4:5], v[4:5], 0.5, v[230:231] op_sel_hi:[1,0,1] neg_lo:[1,0,0] neg_hi:[1,0,0]
	v_pk_mul_f32 v[6:7], v[6:7], s[2:3] op_sel_hi:[1,0]
	v_pk_add_f32 v[20:21], v[234:235], v[32:33]
	v_pk_add_f32 v[8:9], v[2:3], v[6:7] op_sel:[0,1] op_sel_hi:[1,0] neg_lo:[0,1] neg_hi:[0,1]
	v_pk_add_f32 v[2:3], v[2:3], v[6:7] op_sel:[0,1] op_sel_hi:[1,0]
	v_pk_add_f32 v[6:7], v[46:47], v[244:245] neg_lo:[0,1] neg_hi:[0,1]
	v_mov_b32_e32 v14, v2
	v_pk_mul_f32 v[6:7], v[6:7], s[2:3] op_sel_hi:[1,0]
	v_mov_b32_e32 v15, v9
	v_pk_add_f32 v[12:13], v[4:5], v[6:7] op_sel:[0,1] op_sel_hi:[1,0] neg_lo:[0,1] neg_hi:[0,1]
	v_pk_add_f32 v[4:5], v[4:5], v[6:7] op_sel:[0,1] op_sel_hi:[1,0]
	v_mov_b32_e32 v7, v13
	v_mov_b32_e32 v6, v4
	ds_write2_b64 v209, v[6:7], v[14:15] offset0:4 offset1:247
	v_pk_add_f32 v[6:7], v[248:249], v[10:11]
	v_pk_add_f32 v[14:15], v[250:251], v[36:37]
	;; [unrolled: 1-line block ×5, first 2 shown]
	ds_write2_b64 v246, v[6:7], v[14:15] offset0:6 offset1:249
	v_pk_add_f32 v[6:7], v[36:37], v[40:41] neg_lo:[0,1] neg_hi:[0,1]
	v_pk_fma_f32 v[10:11], v[10:11], 0.5, v[250:251] op_sel_hi:[1,0,1] neg_lo:[1,0,0] neg_hi:[1,0,0]
	v_pk_mul_f32 v[6:7], v[6:7], s[2:3] op_sel_hi:[1,0]
	v_mov_b32_e32 v13, v5
	v_pk_add_f32 v[14:15], v[10:11], v[6:7] op_sel:[0,1] op_sel_hi:[1,0] neg_lo:[0,1] neg_hi:[0,1]
	v_pk_add_f32 v[6:7], v[10:11], v[6:7] op_sel:[0,1] op_sel_hi:[1,0]
	v_mov_b32_e32 v5, v15
	v_mov_b32_e32 v4, v6
	ds_write2_b64 v111, v[4:5], v[12:13] offset0:10 offset1:253
	v_mov_b32_e32 v4, v63
	v_mov_b32_e32 v9, v3
	v_pk_mul_f32 v[2:3], v[132:133], v[4:5] op_sel_hi:[1,0]
	v_mov_b32_e32 v15, v7
	v_pk_fma_f32 v[4:5], v[132:133], v[62:63], v[2:3] op_sel:[0,0,1] op_sel_hi:[1,1,0] neg_lo:[0,0,1] neg_hi:[0,0,1]
	v_pk_fma_f32 v[2:3], v[132:133], v[62:63], v[2:3] op_sel:[0,0,1] op_sel_hi:[1,0,0]
	ds_write2_b64 v127, v[8:9], v[14:15] offset1:243
	v_mov_b32_e32 v5, v3
	v_pk_add_f32 v[2:3], v[204:205], v[4:5]
	v_pk_add_f32 v[8:9], v[204:205], v[4:5] neg_lo:[0,1] neg_hi:[0,1]
	v_pk_fma_f32 v[2:3], v[2:3], 0.5, v[220:221] op_sel_hi:[1,0,1] neg_lo:[1,0,0] neg_hi:[1,0,0]
	v_pk_mul_f32 v[8:9], v[8:9], s[2:3] op_sel_hi:[1,0]
	v_pk_add_f32 v[12:13], v[206:207], v[212:213] neg_lo:[0,1] neg_hi:[0,1]
	v_pk_add_f32 v[10:11], v[2:3], v[8:9] op_sel:[0,1] op_sel_hi:[1,0] neg_lo:[0,1] neg_hi:[0,1]
	v_pk_add_f32 v[2:3], v[2:3], v[8:9] op_sel:[0,1] op_sel_hi:[1,0]
	v_pk_add_f32 v[8:9], v[206:207], v[212:213]
	v_pk_mul_f32 v[12:13], v[12:13], s[2:3] op_sel_hi:[1,0]
	v_pk_fma_f32 v[8:9], v[8:9], 0.5, v[236:237] op_sel_hi:[1,0,1] neg_lo:[1,0,0] neg_hi:[1,0,0]
	v_pk_add_f32 v[6:7], v[220:221], v[204:205]
	v_pk_add_f32 v[14:15], v[8:9], v[12:13] op_sel:[0,1] op_sel_hi:[1,0] neg_lo:[0,1] neg_hi:[0,1]
	v_pk_add_f32 v[8:9], v[8:9], v[12:13] op_sel:[0,1] op_sel_hi:[1,0]
	v_pk_add_f32 v[12:13], v[32:33], v[28:29]
	v_pk_add_f32 v[18:19], v[236:237], v[206:207]
	v_pk_fma_f32 v[12:13], v[12:13], 0.5, v[234:235] op_sel_hi:[1,0,1] neg_lo:[1,0,0] neg_hi:[1,0,0]
	v_pk_add_f32 v[20:21], v[20:21], v[28:29]
	v_pk_add_f32 v[24:25], v[12:13], v[22:23] op_sel:[0,1] op_sel_hi:[1,0] neg_lo:[0,1] neg_hi:[0,1]
	v_pk_add_f32 v[12:13], v[12:13], v[22:23] op_sel:[0,1] op_sel_hi:[1,0]
	ds_write_b64 v151, v[20:21] offset:34992
	v_mov_b32_e32 v20, v12
	v_mov_b32_e32 v21, v25
	;; [unrolled: 1-line block ×3, first 2 shown]
	v_pk_add_f32 v[12:13], v[18:19], v[212:213]
	v_pk_add_f32 v[4:5], v[6:7], v[4:5]
	ds_write_b64 v183, v[12:13] offset:34992
	v_mov_b32_e32 v12, v8
	v_mov_b32_e32 v13, v15
	v_mov_b32_e32 v15, v9
	ds_write_b64 v171, v[4:5] offset:34992
	v_mov_b32_e32 v4, v2
	v_mov_b32_e32 v5, v11
	;; [unrolled: 1-line block ×3, first 2 shown]
	v_add_co_u32_e32 v2, vcc, s6, v200
	ds_write_b64 v151, v[20:21] offset:40824
	ds_write_b64 v151, v[24:25] offset:46656
	;; [unrolled: 1-line block ×6, first 2 shown]
	v_addc_co_u32_e32 v3, vcc, 0, v201, vcc
	s_waitcnt lgkmcnt(0)
	s_barrier
	global_load_dwordx4 v[204:207], v[0:1], off offset:1088
	global_load_dwordx4 v[200:203], v[2:3], off offset:1088
	ds_read2_b64 v[212:215], v199 offset0:6 offset1:249
	v_add_co_u32_e32 v6, vcc, s6, v210
	v_lshlrev_b32_e32 v8, 4, v126
	v_mov_b32_e32 v9, v217
	v_addc_co_u32_e32 v7, vcc, 0, v211, vcc
	v_lshl_add_u64 v[8:9], s[10:11], 0, v[8:9]
	v_add_co_u32_e32 v8, vcc, s6, v8
	ds_read2_b64 v[220:223], v246 offset0:6 offset1:249
	s_nop 0
	v_addc_co_u32_e32 v9, vcc, 0, v9, vcc
	v_lshlrev_b32_e32 v24, 4, v134
	v_mov_b32_e32 v25, v217
	v_lshl_add_u64 v[24:25], s[10:11], 0, v[24:25]
	v_add_co_u32_e32 v24, vcc, s6, v24
	v_lshl_add_u64 v[26:27], s[10:11], 0, v[26:27]
	s_nop 0
	v_addc_co_u32_e32 v25, vcc, 0, v25, vcc
	v_add_co_u32_e32 v26, vcc, s6, v26
	v_lshlrev_b32_e32 v40, 4, v224
	s_nop 0
	v_addc_co_u32_e32 v27, vcc, 0, v27, vcc
	v_mov_b32_e32 v41, v217
	v_lshl_add_u64 v[40:41], s[10:11], 0, v[40:41]
	v_add_co_u32_e32 v40, vcc, s6, v40
	v_lshlrev_b32_e32 v42, 4, v226
	v_mov_b32_e32 v43, v217
	v_addc_co_u32_e32 v41, vcc, 0, v41, vcc
	v_lshl_add_u64 v[42:43], s[10:11], 0, v[42:43]
	v_add_co_u32_e32 v42, vcc, s6, v42
	v_mov_b32_e32 v126, v54
	s_nop 0
	v_addc_co_u32_e32 v43, vcc, 0, v43, vcc
	v_add_co_u32_e32 v232, vcc, s6, v232
	v_add_u32_e32 v217, 0x4400, v216
	s_nop 0
	v_addc_co_u32_e32 v233, vcc, 0, v233, vcc
	v_accvgpr_write_b32 a60, v63
	v_accvgpr_read_b32 v63, a58
	s_mov_b64 s[6:7], 0xcd08
	s_waitcnt vmcnt(1)
	v_mov_b32_e32 v2, v207
	s_waitcnt lgkmcnt(1)
	v_pk_mul_f32 v[0:1], v[212:213], v[2:3] op_sel_hi:[1,0]
	s_waitcnt vmcnt(0) lgkmcnt(0)
	v_pk_mul_f32 v[10:11], v[220:221], v[200:201] op_sel:[0,1]
	v_pk_fma_f32 v[4:5], v[212:213], v[206:207], v[0:1] op_sel:[0,0,1] op_sel_hi:[1,1,0] neg_lo:[0,0,1] neg_hi:[0,0,1]
	v_pk_fma_f32 v[0:1], v[212:213], v[206:207], v[0:1] op_sel:[0,0,1] op_sel_hi:[1,0,0]
	v_pk_fma_f32 v[12:13], v[220:221], v[200:201], v[10:11] op_sel:[0,0,1] op_sel_hi:[1,1,0] neg_lo:[0,0,1] neg_hi:[0,0,1]
	v_mov_b32_e32 v0, v203
	v_pk_mul_f32 v[2:3], v[214:215], v[0:1] op_sel_hi:[1,0]
	v_pk_fma_f32 v[10:11], v[220:221], v[200:201], v[10:11] op_sel:[0,0,1] op_sel_hi:[1,0,0]
	v_pk_fma_f32 v[236:237], v[214:215], v[202:203], v[2:3] op_sel:[0,0,1] op_sel_hi:[1,1,0] neg_lo:[0,0,1] neg_hi:[0,0,1]
	v_pk_fma_f32 v[2:3], v[214:215], v[202:203], v[2:3] op_sel:[0,0,1] op_sel_hi:[1,0,0]
	global_load_dwordx4 v[212:215], v[6:7], off offset:1088
	global_load_dwordx4 v[56:59], v[8:9], off offset:1088
	ds_read2_b64 v[228:231], v209 offset0:4 offset1:247
	v_mov_b32_e32 v5, v1
	v_mov_b32_e32 v237, v3
	;; [unrolled: 1-line block ×3, first 2 shown]
	v_accvgpr_write_b32 a242, v207
	v_mov_b32_e32 v207, v126
	v_accvgpr_write_b32 a244, v203
	v_mov_b32_e32 v203, v198
	s_waitcnt vmcnt(1)
	v_pk_mul_f32 v[6:7], v[222:223], v[212:213] op_sel:[0,1]
	s_nop 0
	v_pk_fma_f32 v[14:15], v[222:223], v[212:213], v[6:7] op_sel:[0,0,1] op_sel_hi:[1,1,0] neg_lo:[0,0,1] neg_hi:[0,0,1]
	v_pk_fma_f32 v[6:7], v[222:223], v[212:213], v[6:7] op_sel:[0,0,1] op_sel_hi:[1,0,0]
	ds_read2_b64 v[220:223], v195 offset0:12 offset1:255
	v_mov_b32_e32 v0, v215
	s_waitcnt vmcnt(0) lgkmcnt(1)
	v_pk_mul_f32 v[28:29], v[228:229], v[56:57] op_sel:[0,1]
	v_mov_b32_e32 v15, v7
	v_pk_fma_f32 v[30:31], v[228:229], v[56:57], v[28:29] op_sel:[0,0,1] op_sel_hi:[1,1,0] neg_lo:[0,0,1] neg_hi:[0,0,1]
	s_waitcnt lgkmcnt(0)
	v_pk_mul_f32 v[8:9], v[220:221], v[0:1] op_sel_hi:[1,0]
	v_mov_b32_e32 v0, v59
	v_pk_mul_f32 v[20:21], v[222:223], v[0:1] op_sel_hi:[1,0]
	v_pk_fma_f32 v[18:19], v[220:221], v[214:215], v[8:9] op_sel:[0,0,1] op_sel_hi:[1,1,0] neg_lo:[0,0,1] neg_hi:[0,0,1]
	v_pk_fma_f32 v[8:9], v[220:221], v[214:215], v[8:9] op_sel:[0,0,1] op_sel_hi:[1,0,0]
	v_pk_fma_f32 v[22:23], v[222:223], v[58:59], v[20:21] op_sel:[0,0,1] op_sel_hi:[1,1,0] neg_lo:[0,0,1] neg_hi:[0,0,1]
	v_pk_fma_f32 v[48:49], v[222:223], v[58:59], v[20:21] op_sel:[0,0,1] op_sel_hi:[1,0,0]
	global_load_dwordx4 v[220:223], v[24:25], off offset:1088
	global_load_dwordx4 v[50:53], v[26:27], off offset:1088
	v_pk_fma_f32 v[28:29], v[228:229], v[56:57], v[28:29] op_sel:[0,0,1] op_sel_hi:[1,0,0]
	ds_read2_b64 v[248:251], v111 offset0:10 offset1:253
	v_mov_b32_e32 v19, v9
	v_pk_add_f32 v[6:7], v[14:15], v[18:19] neg_lo:[0,1] neg_hi:[0,1]
	v_mov_b32_e32 v31, v29
	v_pk_mul_f32 v[6:7], v[6:7], s[2:3] op_sel_hi:[1,0]
	v_mov_b32_e32 v23, v49
	v_accvgpr_write_b32 a248, v59
	v_accvgpr_read_b32 v59, a3
	v_accvgpr_write_b32 a246, v215
	v_mov_b32_e32 v215, v208
	s_waitcnt vmcnt(1)
	v_pk_mul_f32 v[24:25], v[230:231], v[220:221] op_sel:[0,1]
	s_nop 0
	v_pk_fma_f32 v[26:27], v[230:231], v[220:221], v[24:25] op_sel:[0,0,1] op_sel_hi:[1,1,0] neg_lo:[0,0,1] neg_hi:[0,0,1]
	v_pk_fma_f32 v[24:25], v[230:231], v[220:221], v[24:25] op_sel:[0,0,1] op_sel_hi:[1,0,0]
	ds_read2_b64 v[228:231], v34 offset0:2 offset1:245
	v_mov_b32_e32 v0, v223
	v_accvgpr_write_b32 a250, v0
	v_mov_b32_e32 v223, v34
	s_waitcnt vmcnt(0) lgkmcnt(1)
	v_pk_mul_f32 v[44:45], v[248:249], v[50:51] op_sel:[0,1]
	s_waitcnt lgkmcnt(0)
	v_pk_mul_f32 v[32:33], v[228:229], v[0:1] op_sel_hi:[1,0]
	v_mov_b32_e32 v0, v53
	v_pk_mul_f32 v[36:37], v[230:231], v[0:1] op_sel_hi:[1,0]
	v_pk_fma_f32 v[34:35], v[228:229], v[222:223], v[32:33] op_sel:[0,0,1] op_sel_hi:[1,1,0] neg_lo:[0,0,1] neg_hi:[0,0,1]
	v_pk_fma_f32 v[32:33], v[228:229], v[222:223], v[32:33] op_sel:[0,0,1] op_sel_hi:[1,0,0]
	v_pk_fma_f32 v[38:39], v[230:231], v[52:53], v[36:37] op_sel:[0,0,1] op_sel_hi:[1,1,0] neg_lo:[0,0,1] neg_hi:[0,0,1]
	v_pk_fma_f32 v[36:37], v[230:231], v[52:53], v[36:37] op_sel:[0,0,1] op_sel_hi:[1,0,0]
	global_load_dwordx4 v[228:231], v[40:41], off offset:1088
	global_load_dwordx4 v[224:227], v[42:43], off offset:1088
	v_pk_fma_f32 v[46:47], v[248:249], v[50:51], v[44:45] op_sel:[0,0,1] op_sel_hi:[1,1,0] neg_lo:[0,0,1] neg_hi:[0,0,1]
	v_pk_fma_f32 v[44:45], v[248:249], v[50:51], v[44:45] op_sel:[0,0,1] op_sel_hi:[1,0,0]
	v_mov_b32_e32 v27, v25
	v_mov_b32_e32 v35, v33
	;; [unrolled: 1-line block ×4, first 2 shown]
	v_accvgpr_write_b32 a252, v53
	s_waitcnt vmcnt(1)
	v_pk_mul_f32 v[40:41], v[250:251], v[228:229] op_sel:[0,1]
	s_nop 0
	v_pk_fma_f32 v[42:43], v[250:251], v[228:229], v[40:41] op_sel:[0,0,1] op_sel_hi:[1,1,0] neg_lo:[0,0,1] neg_hi:[0,0,1]
	v_pk_fma_f32 v[40:41], v[250:251], v[228:229], v[40:41] op_sel:[0,0,1] op_sel_hi:[1,0,0]
	ds_read2_b64 v[248:251], v54 offset0:8 offset1:251
	v_mov_b32_e32 v0, v231
	v_accvgpr_write_b32 a64, v231
	v_mov_b32_e32 v43, v41
	s_waitcnt vmcnt(0)
	v_accvgpr_write_b32 a66, v227
	s_waitcnt lgkmcnt(0)
	v_pk_mul_f32 v[132:133], v[248:249], v[0:1] op_sel_hi:[1,0]
	v_mov_b32_e32 v0, v227
	v_pk_mul_f32 v[234:235], v[250:251], v[0:1] op_sel_hi:[1,0]
	v_pk_fma_f32 v[238:239], v[248:249], v[230:231], v[132:133] op_sel:[0,0,1] op_sel_hi:[1,1,0] neg_lo:[0,0,1] neg_hi:[0,0,1]
	v_pk_fma_f32 v[132:133], v[248:249], v[230:231], v[132:133] op_sel:[0,0,1] op_sel_hi:[1,0,0]
	v_pk_fma_f32 v[240:241], v[250:251], v[226:227], v[234:235] op_sel:[0,0,1] op_sel_hi:[1,1,0] neg_lo:[0,0,1] neg_hi:[0,0,1]
	v_pk_fma_f32 v[242:243], v[250:251], v[226:227], v[234:235] op_sel:[0,0,1] op_sel_hi:[1,0,0]
	ds_read2_b64 v[248:251], v127 offset1:243
	ds_read2_b64 v[0:3], v216 offset1:243
	v_accvgpr_read_b32 v231, a1
	v_mov_b32_e32 v239, v133
	v_mov_b32_e32 v241, v243
	s_waitcnt lgkmcnt(1)
	v_pk_mul_f32 v[234:235], v[248:249], v[224:225] op_sel:[0,1]
	v_mov_b32_e32 v227, v195
	v_pk_fma_f32 v[244:245], v[248:249], v[224:225], v[234:235] op_sel:[0,0,1] op_sel_hi:[1,1,0] neg_lo:[0,0,1] neg_hi:[0,0,1]
	v_pk_fma_f32 v[252:253], v[248:249], v[224:225], v[234:235] op_sel:[0,0,1] op_sel_hi:[1,0,0]
	global_load_dwordx4 v[232:235], v[232:233], off offset:1088
	v_mov_b32_e32 v245, v253
	s_waitcnt vmcnt(0)
	v_pk_mul_f32 v[248:249], v[250:251], v[232:233] op_sel:[0,1]
	s_nop 0
	v_pk_fma_f32 v[254:255], v[250:251], v[232:233], v[248:249] op_sel:[0,0,1] op_sel_hi:[1,1,0] neg_lo:[0,0,1] neg_hi:[0,0,1]
	v_pk_fma_f32 v[20:21], v[250:251], v[232:233], v[248:249] op_sel:[0,0,1] op_sel_hi:[1,0,0]
	ds_read2_b64 v[248:251], v115 offset0:8 offset1:251
	v_mov_b32_e32 v255, v21
	v_accvgpr_write_b32 a62, v235
	s_waitcnt lgkmcnt(0)
	v_pk_mul_f32 v[54:55], v[250:251], v[204:205] op_sel:[0,1]
	s_nop 0
	v_pk_fma_f32 v[134:135], v[250:251], v[204:205], v[54:55] op_sel:[0,0,1] op_sel_hi:[1,1,0] neg_lo:[0,0,1] neg_hi:[0,0,1]
	v_pk_fma_f32 v[54:55], v[250:251], v[204:205], v[54:55] op_sel:[0,0,1] op_sel_hi:[1,0,0]
	s_nop 0
	v_mov_b32_e32 v135, v55
	v_pk_add_f32 v[10:11], v[134:135], v[4:5]
	v_pk_add_f32 v[54:55], v[12:13], v[236:237]
	v_pk_fma_f32 v[10:11], v[10:11], 0.5, v[0:1] op_sel_hi:[1,0,1] neg_lo:[1,0,0] neg_hi:[1,0,0]
	v_pk_fma_f32 v[54:55], v[54:55], 0.5, v[2:3] op_sel_hi:[1,0,1] neg_lo:[1,0,0] neg_hi:[1,0,0]
	v_pk_add_f32 v[0:1], v[0:1], v[134:135]
	v_pk_add_f32 v[2:3], v[2:3], v[12:13]
	v_pk_add_f32 v[134:135], v[134:135], v[4:5] neg_lo:[0,1] neg_hi:[0,1]
	v_pk_add_f32 v[12:13], v[12:13], v[236:237] neg_lo:[0,1] neg_hi:[0,1]
	v_pk_mul_f32 v[134:135], v[134:135], s[2:3] op_sel_hi:[1,0]
	v_pk_mul_f32 v[12:13], v[12:13], s[2:3] op_sel_hi:[1,0]
	v_pk_add_f32 v[250:251], v[10:11], v[134:135] op_sel:[0,1] op_sel_hi:[1,0]
	v_pk_add_f32 v[10:11], v[10:11], v[134:135] op_sel:[0,1] op_sel_hi:[1,0] neg_lo:[0,1] neg_hi:[0,1]
	v_pk_add_f32 v[246:247], v[54:55], v[12:13] op_sel:[0,1] op_sel_hi:[1,0]
	v_pk_add_f32 v[12:13], v[54:55], v[12:13] op_sel:[0,1] op_sel_hi:[1,0] neg_lo:[0,1] neg_hi:[0,1]
	v_mov_b32_e32 v54, v250
	v_mov_b32_e32 v55, v11
	;; [unrolled: 1-line block ×6, first 2 shown]
	ds_write2_b64 v217, v[54:55], v[134:135] offset0:11 offset1:254
	ds_write2_b64 v199, v[10:11], v[12:13] offset0:6 offset1:249
	v_pk_add_f32 v[12:13], v[0:1], v[4:5]
	v_pk_add_f32 v[54:55], v[2:3], v[236:237]
	ds_read2_b64 v[0:3], v208 offset0:6 offset1:249
	v_pk_add_f32 v[4:5], v[14:15], v[18:19]
	s_waitcnt lgkmcnt(0)
	v_pk_fma_f32 v[4:5], v[4:5], 0.5, v[0:1] op_sel_hi:[1,0,1] neg_lo:[1,0,0] neg_hi:[1,0,0]
	s_nop 0
	v_pk_add_f32 v[8:9], v[4:5], v[6:7] op_sel:[0,1] op_sel_hi:[1,0]
	v_pk_add_f32 v[4:5], v[4:5], v[6:7] op_sel:[0,1] op_sel_hi:[1,0] neg_lo:[0,1] neg_hi:[0,1]
	v_mov_b32_e32 v6, v8
	v_mov_b32_e32 v7, v5
	;; [unrolled: 1-line block ×3, first 2 shown]
	ds_write_b64 v216, v[6:7] offset:21384
	ds_write_b64 v216, v[4:5] offset:38880
	ds_read_b64 v[124:125], v216 offset:50544
	ds_read2_b64 v[4:7], v107 offset0:12 offset1:255
	ds_read2_b64 v[8:11], v198 offset0:2 offset1:245
	ds_write2_b64 v216, v[12:13], v[54:55] offset1:243
	v_pk_add_f32 v[0:1], v[0:1], v[14:15]
	v_pk_add_f32 v[12:13], v[2:3], v[30:31]
	;; [unrolled: 1-line block ×4, first 2 shown]
	ds_write2_b64 v208, v[0:1], v[12:13] offset0:6 offset1:249
	v_pk_add_f32 v[0:1], v[30:31], v[22:23]
	v_pk_add_f32 v[14:15], v[26:27], v[34:35] neg_lo:[0,1] neg_hi:[0,1]
	v_pk_fma_f32 v[0:1], v[0:1], 0.5, v[2:3] op_sel_hi:[1,0,1] neg_lo:[1,0,0] neg_hi:[1,0,0]
	v_pk_add_f32 v[2:3], v[30:31], v[22:23] neg_lo:[0,1] neg_hi:[0,1]
	v_pk_mul_f32 v[14:15], v[14:15], s[2:3] op_sel_hi:[1,0]
	v_pk_mul_f32 v[2:3], v[2:3], s[2:3] op_sel_hi:[1,0]
	s_nop 0
	v_pk_add_f32 v[12:13], v[0:1], v[2:3] op_sel:[0,1] op_sel_hi:[1,0]
	v_pk_add_f32 v[0:1], v[0:1], v[2:3] op_sel:[0,1] op_sel_hi:[1,0] neg_lo:[0,1] neg_hi:[0,1]
	v_pk_add_f32 v[2:3], v[26:27], v[34:35]
	s_waitcnt lgkmcnt(3)
	v_pk_fma_f32 v[2:3], v[2:3], 0.5, v[4:5] op_sel_hi:[1,0,1] neg_lo:[1,0,0] neg_hi:[1,0,0]
	s_nop 0
	v_pk_add_f32 v[18:19], v[2:3], v[14:15] op_sel:[0,1] op_sel_hi:[1,0]
	v_pk_add_f32 v[2:3], v[2:3], v[14:15] op_sel:[0,1] op_sel_hi:[1,0] neg_lo:[0,1] neg_hi:[0,1]
	v_mov_b32_e32 v15, v1
	v_mov_b32_e32 v23, v3
	;; [unrolled: 1-line block ×4, first 2 shown]
	ds_write2_b64 v231, v[0:1], v[2:3] offset0:7 offset1:250
	v_pk_add_f32 v[0:1], v[4:5], v[26:27]
	v_pk_add_f32 v[2:3], v[6:7], v[46:47]
	;; [unrolled: 1-line block ×4, first 2 shown]
	ds_write2_b64 v107, v[0:1], v[2:3] offset0:12 offset1:255
	v_pk_add_f32 v[0:1], v[46:47], v[38:39]
	v_pk_add_f32 v[2:3], v[46:47], v[38:39] neg_lo:[0,1] neg_hi:[0,1]
	v_pk_fma_f32 v[0:1], v[0:1], 0.5, v[6:7] op_sel_hi:[1,0,1] neg_lo:[1,0,0] neg_hi:[1,0,0]
	v_pk_mul_f32 v[2:3], v[2:3], s[2:3] op_sel_hi:[1,0]
	v_pk_add_f32 v[6:7], v[42:43], v[238:239] neg_lo:[0,1] neg_hi:[0,1]
	v_pk_add_f32 v[4:5], v[0:1], v[2:3] op_sel:[0,1] op_sel_hi:[1,0]
	v_pk_add_f32 v[0:1], v[0:1], v[2:3] op_sel:[0,1] op_sel_hi:[1,0] neg_lo:[0,1] neg_hi:[0,1]
	v_pk_add_f32 v[2:3], v[42:43], v[238:239]
	v_pk_mul_f32 v[6:7], v[6:7], s[2:3] op_sel_hi:[1,0]
	s_waitcnt lgkmcnt(4)
	v_pk_fma_f32 v[2:3], v[2:3], 0.5, v[8:9] op_sel_hi:[1,0,1] neg_lo:[1,0,0] neg_hi:[1,0,0]
	v_mov_b32_e32 v14, v12
	v_mov_b32_e32 v22, v18
	v_pk_add_f32 v[12:13], v[2:3], v[6:7] op_sel:[0,1] op_sel_hi:[1,0]
	v_pk_add_f32 v[2:3], v[2:3], v[6:7] op_sel:[0,1] op_sel_hi:[1,0] neg_lo:[0,1] neg_hi:[0,1]
	ds_write2_b64 v209, v[14:15], v[22:23] offset0:4 offset1:247
	v_mov_b32_e32 v7, v1
	v_mov_b32_e32 v15, v3
	;; [unrolled: 1-line block ×4, first 2 shown]
	ds_write2_b64 v59, v[0:1], v[2:3] offset0:5 offset1:248
	v_pk_add_f32 v[0:1], v[8:9], v[42:43]
	v_pk_add_f32 v[2:3], v[10:11], v[244:245]
	v_mov_b32_e32 v6, v4
	v_pk_add_f32 v[0:1], v[0:1], v[238:239]
	v_pk_add_f32 v[2:3], v[2:3], v[240:241]
	v_mov_b32_e32 v4, v235
	ds_write2_b64 v198, v[0:1], v[2:3] offset0:2 offset1:245
	v_pk_mul_f32 v[2:3], v[124:125], v[4:5] op_sel_hi:[1,0]
	v_pk_add_f32 v[0:1], v[244:245], v[240:241]
	v_pk_fma_f32 v[4:5], v[124:125], v[234:235], v[2:3] op_sel:[0,0,1] op_sel_hi:[1,1,0] neg_lo:[0,0,1] neg_hi:[0,0,1]
	v_pk_fma_f32 v[2:3], v[124:125], v[234:235], v[2:3] op_sel:[0,0,1] op_sel_hi:[1,0,0]
	v_pk_add_f32 v[8:9], v[244:245], v[240:241] neg_lo:[0,1] neg_hi:[0,1]
	v_pk_fma_f32 v[0:1], v[0:1], 0.5, v[10:11] op_sel_hi:[1,0,1] neg_lo:[1,0,0] neg_hi:[1,0,0]
	v_mov_b32_e32 v5, v3
	v_pk_mul_f32 v[8:9], v[8:9], s[2:3] op_sel_hi:[1,0]
	v_pk_add_f32 v[2:3], v[254:255], v[4:5]
	v_pk_add_f32 v[10:11], v[0:1], v[8:9] op_sel:[0,1] op_sel_hi:[1,0]
	v_pk_add_f32 v[0:1], v[0:1], v[8:9] op_sel:[0,1] op_sel_hi:[1,0] neg_lo:[0,1] neg_hi:[0,1]
	v_pk_add_f32 v[8:9], v[254:255], v[4:5] neg_lo:[0,1] neg_hi:[0,1]
	v_pk_fma_f32 v[2:3], v[2:3], 0.5, v[248:249] op_sel_hi:[1,0,1] neg_lo:[1,0,0] neg_hi:[1,0,0]
	v_pk_mul_f32 v[8:9], v[8:9], s[2:3] op_sel_hi:[1,0]
	v_mov_b32_e32 v14, v12
	v_pk_add_f32 v[12:13], v[2:3], v[8:9] op_sel:[0,1] op_sel_hi:[1,0]
	v_pk_add_f32 v[2:3], v[2:3], v[8:9] op_sel:[0,1] op_sel_hi:[1,0] neg_lo:[0,1] neg_hi:[0,1]
	ds_write2_b64 v111, v[6:7], v[14:15] offset0:10 offset1:253
	v_pk_add_f32 v[6:7], v[248:249], v[254:255]
	v_mov_b32_e32 v9, v1
	v_mov_b32_e32 v15, v3
	;; [unrolled: 1-line block ×4, first 2 shown]
	ds_write2_b64 v63, v[0:1], v[2:3] offset0:11 offset1:254
	v_pk_add_f32 v[0:1], v[6:7], v[4:5]
	ds_write_b64 v216, v[0:1] offset:15552
	v_accvgpr_read_b32 v0, a128
	v_mov_b32_e32 v8, v10
	v_mov_b32_e32 v14, v12
	v_accvgpr_read_b32 v1, a129
	ds_write2_b64 v127, v[8:9], v[14:15] offset1:243
	s_waitcnt lgkmcnt(0)
	s_barrier
	global_load_dwordx2 v[0:1], v[0:1], off offset:3336
	s_mov_b32 s3, 0x11000
	v_add_co_u32_e32 v250, vcc, s3, v16
	v_lshl_add_u64 v[2:3], v[16:17], 0, s[6:7]
	s_nop 0
	v_addc_co_u32_e32 v251, vcc, 0, v17, vcc
	global_load_dwordx2 v[248:249], v[2:3], off offset:1944
	global_load_dwordx2 v[236:237], v[2:3], off offset:3888
	;; [unrolled: 1-line block ×3, first 2 shown]
	ds_read2_b64 v[2:5], v216 offset1:243
	s_mov_b32 s3, 0x15000
	v_accvgpr_read_b32 v235, a3
	s_waitcnt vmcnt(3) lgkmcnt(0)
	v_mul_f32_e32 v8, v3, v1
	v_mul_f32_e32 v9, v2, v1
	v_fma_f32 v8, v2, v0, -v8
	v_fmac_f32_e32 v9, v3, v0
	ds_write_b64 v216, v[8:9]
	s_waitcnt vmcnt(2)
	v_mul_f32_e32 v0, v5, v249
	v_fma_f32 v10, v4, v248, -v0
	v_add_co_u32_e32 v0, vcc, s3, v16
	v_mul_f32_e32 v11, v4, v249
	s_nop 0
	v_addc_co_u32_e32 v1, vcc, 0, v17, vcc
	v_fmac_f32_e32 v11, v5, v248
	global_load_dwordx2 v[4:5], v[0:1], off offset:1464
	global_load_dwordx2 v[8:9], v[0:1], off offset:3408
	s_mov_b32 s3, 0x12000
	v_add_co_u32_e32 v12, vcc, s3, v16
	s_mov_b32 s3, 0xe000
	s_nop 0
	v_addc_co_u32_e32 v13, vcc, 0, v17, vcc
	global_load_dwordx2 v[14:15], v[12:13], off offset:144
	global_load_dwordx2 v[18:19], v[250:251], off offset:2296
	ds_read2_b64 v[0:3], v199 offset0:6 offset1:249
	s_waitcnt vmcnt(3) lgkmcnt(0)
	v_mul_f32_e32 v20, v1, v5
	v_fma_f32 v20, v0, v4, -v20
	v_mul_f32_e32 v21, v0, v5
	s_waitcnt vmcnt(2)
	v_mul_f32_e32 v0, v3, v9
	v_mul_f32_e32 v5, v2, v9
	v_fmac_f32_e32 v21, v1, v4
	v_fma_f32 v4, v2, v8, -v0
	v_fmac_f32_e32 v5, v3, v8
	ds_read2_b64 v[0:3], v119 offset0:6 offset1:249
	s_waitcnt vmcnt(0) lgkmcnt(0)
	v_mul_f32_e32 v8, v1, v19
	v_fma_f32 v8, v0, v18, -v8
	v_mul_f32_e32 v9, v0, v19
	v_mul_f32_e32 v0, v3, v15
	;; [unrolled: 1-line block ×3, first 2 shown]
	v_fmac_f32_e32 v9, v1, v18
	v_fma_f32 v18, v2, v14, -v0
	v_fmac_f32_e32 v19, v3, v14
	ds_read2_b64 v[0:3], v208 offset0:6 offset1:249
	s_waitcnt lgkmcnt(0)
	v_mul_f32_e32 v14, v1, v237
	v_fma_f32 v14, v0, v236, -v14
	v_mul_f32_e32 v15, v0, v237
	v_add_co_u32_e32 v0, vcc, s3, v16
	v_fmac_f32_e32 v15, v1, v236
	s_nop 0
	v_addc_co_u32_e32 v1, vcc, 0, v17, vcc
	s_mov_b32 s3, 0x17000
	v_add_co_u32_e32 v22, vcc, s3, v16
	s_mov_b32 s3, 0x16000
	s_nop 0
	v_addc_co_u32_e32 v23, vcc, 0, v17, vcc
	global_load_dwordx2 v[24:25], v[0:1], off offset:976
	global_load_dwordx2 v[26:27], v[0:1], off offset:2920
	;; [unrolled: 1-line block ×3, first 2 shown]
	s_nop 0
	global_load_dwordx2 v[22:23], v[22:23], off offset:2992
	s_waitcnt vmcnt(3)
	v_mul_f32_e32 v0, v3, v25
	v_fma_f32 v30, v2, v24, -v0
	v_add_co_u32_e32 v0, vcc, s3, v16
	v_mul_f32_e32 v31, v2, v25
	s_nop 0
	v_addc_co_u32_e32 v1, vcc, 0, v17, vcc
	v_fmac_f32_e32 v31, v3, v24
	global_load_dwordx2 v[24:25], v[0:1], off offset:1256
	global_load_dwordx2 v[32:33], v[0:1], off offset:3200
	;; [unrolled: 1-line block ×3, first 2 shown]
	ds_read2_b64 v[0:3], v195 offset0:12 offset1:255
	global_load_dwordx2 v[12:13], v[12:13], off offset:2088
	s_mov_b32 s3, 0xf000
	s_waitcnt vmcnt(3) lgkmcnt(0)
	v_mul_f32_e32 v36, v1, v25
	v_fma_f32 v36, v0, v24, -v36
	v_mul_f32_e32 v37, v0, v25
	s_waitcnt vmcnt(2)
	v_mul_f32_e32 v0, v3, v33
	v_mul_f32_e32 v25, v2, v33
	v_fmac_f32_e32 v37, v1, v24
	v_fma_f32 v24, v2, v32, -v0
	v_fmac_f32_e32 v25, v3, v32
	ds_read2_b64 v[0:3], v209 offset0:4 offset1:247
	s_waitcnt vmcnt(0) lgkmcnt(0)
	v_mul_f32_e32 v32, v1, v13
	v_fma_f32 v32, v0, v12, -v32
	v_mul_f32_e32 v33, v0, v13
	v_mul_f32_e32 v0, v3, v35
	;; [unrolled: 1-line block ×3, first 2 shown]
	v_fmac_f32_e32 v33, v1, v12
	v_fma_f32 v12, v2, v34, -v0
	v_fmac_f32_e32 v13, v3, v34
	ds_read2_b64 v[0:3], v107 offset0:12 offset1:255
	s_waitcnt lgkmcnt(0)
	v_mul_f32_e32 v34, v1, v27
	v_fma_f32 v34, v0, v26, -v34
	v_mul_f32_e32 v35, v0, v27
	v_add_co_u32_e32 v0, vcc, s3, v16
	v_fmac_f32_e32 v35, v1, v26
	s_nop 0
	v_addc_co_u32_e32 v1, vcc, 0, v17, vcc
	s_mov_b32 s3, 0x13000
	v_add_co_u32_e32 v26, vcc, s3, v16
	s_mov_b32 s3, 0x18000
	s_nop 0
	v_addc_co_u32_e32 v27, vcc, 0, v17, vcc
	global_load_dwordx2 v[38:39], v[0:1], off offset:768
	global_load_dwordx2 v[40:41], v[0:1], off offset:2712
	;; [unrolled: 1-line block ×3, first 2 shown]
	s_waitcnt vmcnt(2)
	v_mul_f32_e32 v0, v3, v39
	v_mul_f32_e32 v45, v2, v39
	v_fma_f32 v44, v2, v38, -v0
	v_fmac_f32_e32 v45, v3, v38
	ds_read2_b64 v[0:3], v223 offset0:2 offset1:245
	s_waitcnt lgkmcnt(0)
	v_mul_f32_e32 v38, v1, v29
	v_fma_f32 v38, v0, v28, -v38
	v_mul_f32_e32 v39, v0, v29
	v_mul_f32_e32 v0, v3, v23
	;; [unrolled: 1-line block ×3, first 2 shown]
	v_fmac_f32_e32 v39, v1, v28
	v_fma_f32 v28, v2, v22, -v0
	v_fmac_f32_e32 v29, v3, v22
	ds_read2_b64 v[0:3], v111 offset0:10 offset1:253
	s_waitcnt vmcnt(0) lgkmcnt(0)
	v_mul_f32_e32 v22, v1, v43
	v_mul_f32_e32 v23, v0, v43
	v_fma_f32 v22, v0, v42, -v22
	v_fmac_f32_e32 v23, v1, v42
	global_load_dwordx2 v[0:1], v[26:27], off offset:3824
	s_waitcnt vmcnt(0)
	v_mul_f32_e32 v26, v3, v1
	v_mul_f32_e32 v27, v2, v1
	v_fma_f32 v26, v2, v0, -v26
	v_fmac_f32_e32 v27, v3, v0
	ds_read2_b64 v[0:3], v198 offset0:2 offset1:245
	s_waitcnt lgkmcnt(0)
	v_mul_f32_e32 v42, v1, v41
	v_fma_f32 v42, v0, v40, -v42
	v_mul_f32_e32 v43, v0, v41
	v_add_co_u32_e32 v0, vcc, s3, v16
	v_fmac_f32_e32 v43, v1, v40
	s_nop 0
	v_addc_co_u32_e32 v1, vcc, 0, v17, vcc
	s_mov_b32 s3, 0x10000
	v_add_co_u32_e32 v40, vcc, s3, v16
	s_mov_b32 s3, 0x14000
	s_nop 0
	v_addc_co_u32_e32 v41, vcc, 0, v17, vcc
	global_load_dwordx2 v[46:47], v[40:41], off offset:560
	s_nop 0
	global_load_dwordx2 v[40:41], v[40:41], off offset:2504
	s_nop 0
	global_load_dwordx2 v[48:49], v[0:1], off offset:2784
	s_waitcnt vmcnt(2)
	v_mul_f32_e32 v53, v3, v47
	v_mul_f32_e32 v55, v2, v47
	v_fma_f32 v54, v2, v46, -v53
	v_fmac_f32_e32 v55, v3, v46
	global_load_dwordx2 v[46:47], v[0:1], off offset:840
	ds_read2_b64 v[0:3], v126 offset0:8 offset1:251
	s_waitcnt vmcnt(0) lgkmcnt(0)
	v_mul_f32_e32 v53, v1, v47
	v_fma_f32 v124, v0, v46, -v53
	v_mul_f32_e32 v125, v0, v47
	v_mul_f32_e32 v0, v3, v49
	;; [unrolled: 1-line block ×3, first 2 shown]
	v_fmac_f32_e32 v125, v1, v46
	v_fma_f32 v46, v2, v48, -v0
	v_fmac_f32_e32 v47, v3, v48
	ds_read2_b64 v[0:3], v115 offset0:8 offset1:251
	s_waitcnt lgkmcnt(0)
	v_mul_f32_e32 v48, v3, v7
	v_fma_f32 v48, v2, v6, -v48
	v_mul_f32_e32 v49, v2, v7
	v_mul_f32_e32 v2, v1, v41
	v_fmac_f32_e32 v49, v3, v6
	v_fma_f32 v6, v0, v40, -v2
	v_mul_f32_e32 v7, v0, v41
	v_add_co_u32_e32 v0, vcc, s3, v16
	v_fmac_f32_e32 v7, v1, v40
	s_nop 0
	v_addc_co_u32_e32 v1, vcc, 0, v17, vcc
	s_mov_b32 s3, 0x19000
	v_add_co_u32_e32 v2, vcc, s3, v16
	s_nop 1
	v_addc_co_u32_e32 v3, vcc, 0, v17, vcc
	global_load_dwordx2 v[16:17], v[0:1], off offset:1672
	global_load_dwordx2 v[40:41], v[0:1], off offset:3616
	global_load_dwordx2 v[132:133], v[2:3], off offset:632
	ds_read2_b64 v[0:3], v127 offset1:243
	s_waitcnt vmcnt(2) lgkmcnt(0)
	v_mul_f32_e32 v53, v1, v17
	v_fma_f32 v134, v0, v16, -v53
	v_mul_f32_e32 v135, v0, v17
	s_waitcnt vmcnt(1)
	v_mul_f32_e32 v0, v3, v41
	v_fmac_f32_e32 v135, v1, v16
	v_fma_f32 v0, v2, v40, -v0
	v_mul_f32_e32 v1, v2, v41
	v_add_u32_e32 v2, 0x780, v216
	ds_write2_b64 v2, v[10:11], v[14:15] offset0:3 offset1:246
	v_accvgpr_read_b32 v2, a59
	ds_write2_b64 v2, v[4:5], v[36:37] offset0:9 offset1:252
	v_add_u32_e32 v2, 0x5380, v216
	ds_write2_b64 v2, v[18:19], v[32:33] offset0:1 offset1:244
	v_add_u32_e32 v2, 0x1680, v216
	;; [unrolled: 2-line block ×6, first 2 shown]
	v_fmac_f32_e32 v1, v3, v40
	ds_write2_b64 v2, v[54:55], v[6:7] offset0:5 offset1:248
	v_add_u32_e32 v2, 0x8100, v216
	ds_write2_b64 v2, v[0:1], v[20:21] offset0:3 offset1:246
	ds_write2_b64 v217, v[48:49], v[8:9] offset0:11 offset1:254
	ds_write2_b64 v231, v[24:25], v[38:39] offset0:7 offset1:250
	ds_write2_b64 v59, v[28:29], v[124:125] offset0:5 offset1:248
	ds_read_b64 v[0:1], v216 offset:50544
	v_mov_b32_e32 v59, v199
	s_waitcnt vmcnt(0) lgkmcnt(0)
	v_mul_f32_e32 v2, v1, v133
	v_mul_f32_e32 v3, v0, v133
	v_fma_f32 v2, v0, v132, -v2
	v_fmac_f32_e32 v3, v1, v132
	ds_write2_b64 v63, v[46:47], v[2:3] offset0:11 offset1:254
	s_waitcnt lgkmcnt(0)
	s_barrier
	ds_read2_b64 v[36:39], v199 offset0:6 offset1:249
	ds_read2_b64 v[4:7], v115 offset0:8 offset1:251
	ds_read2_b64 v[8:11], v216 offset1:243
	s_waitcnt lgkmcnt(1)
	v_pk_add_f32 v[0:1], v[6:7], v[36:37]
	v_pk_add_f32 v[2:3], v[6:7], v[36:37] neg_lo:[0,1] neg_hi:[0,1]
	s_waitcnt lgkmcnt(0)
	v_pk_fma_f32 v[0:1], v[0:1], 0.5, v[8:9] op_sel_hi:[1,0,1] neg_lo:[1,0,0] neg_hi:[1,0,0]
	v_pk_mul_f32 v[2:3], v[2:3], s[2:3] op_sel_hi:[1,0]
	s_nop 0
	v_pk_add_f32 v[44:45], v[0:1], v[2:3] op_sel:[0,1] op_sel_hi:[1,0] neg_lo:[0,1] neg_hi:[0,1]
	v_pk_add_f32 v[46:47], v[0:1], v[2:3] op_sel:[0,1] op_sel_hi:[1,0]
	v_pk_add_f32 v[0:1], v[8:9], v[6:7]
	ds_read_b64 v[48:49], v216 offset:50544
	ds_read2_b64 v[6:9], v119 offset0:6 offset1:249
	ds_read2_b64 v[248:251], v208 offset0:6 offset1:249
	v_pk_add_f32 v[36:37], v[0:1], v[36:37]
	v_mov_b32_e32 v54, v44
	v_mov_b32_e32 v55, v47
	v_accvgpr_read_b32 v44, a161
	ds_read2_b64 v[0:3], v195 offset0:12 offset1:255
	ds_read2_b64 v[12:15], v209 offset0:4 offset1:247
	;; [unrolled: 1-line block ×7, first 2 shown]
	ds_read2_b64 v[32:35], v127 offset1:243
	s_waitcnt lgkmcnt(0)
	s_barrier
	ds_write2_b64 v44, v[36:37], v[54:55] offset1:1
	v_pk_add_f32 v[36:37], v[6:7], v[38:39]
	v_mov_b32_e32 v47, v45
	v_pk_fma_f32 v[36:37], v[36:37], 0.5, v[10:11] op_sel_hi:[1,0,1] neg_lo:[1,0,0] neg_hi:[1,0,0]
	v_pk_add_f32 v[10:11], v[10:11], v[6:7]
	v_pk_add_f32 v[6:7], v[6:7], v[38:39] neg_lo:[0,1] neg_hi:[0,1]
	v_pk_add_f32 v[10:11], v[10:11], v[38:39]
	v_pk_mul_f32 v[6:7], v[6:7], s[2:3] op_sel_hi:[1,0]
	ds_write_b64 v44, v[46:47] offset:16
	v_pk_add_f32 v[38:39], v[36:37], v[6:7] op_sel:[0,1] op_sel_hi:[1,0] neg_lo:[0,1] neg_hi:[0,1]
	v_pk_add_f32 v[6:7], v[36:37], v[6:7] op_sel:[0,1] op_sel_hi:[1,0]
	v_mov_b32_e32 v36, v38
	v_mov_b32_e32 v37, v7
	v_accvgpr_read_b32 v38, a163
	v_mov_b32_e32 v7, v39
	ds_write2_b64 v38, v[10:11], v[36:37] offset1:1
	ds_write_b64 v38, v[6:7] offset:16
	v_pk_add_f32 v[6:7], v[248:249], v[8:9]
	v_pk_add_f32 v[10:11], v[8:9], v[0:1]
	v_pk_add_f32 v[8:9], v[8:9], v[0:1] neg_lo:[0,1] neg_hi:[0,1]
	v_pk_fma_f32 v[10:11], v[10:11], 0.5, v[248:249] op_sel_hi:[1,0,1] neg_lo:[1,0,0] neg_hi:[1,0,0]
	v_pk_mul_f32 v[8:9], v[8:9], s[2:3] op_sel_hi:[1,0]
	v_pk_add_f32 v[0:1], v[6:7], v[0:1]
	v_pk_add_f32 v[36:37], v[10:11], v[8:9] op_sel:[0,1] op_sel_hi:[1,0] neg_lo:[0,1] neg_hi:[0,1]
	v_pk_add_f32 v[8:9], v[10:11], v[8:9] op_sel:[0,1] op_sel_hi:[1,0]
	v_mov_b32_e32 v6, v36
	v_mov_b32_e32 v7, v9
	v_accvgpr_read_b32 v10, a157
	ds_write2_b64 v10, v[0:1], v[6:7] offset1:1
	v_pk_add_f32 v[6:7], v[250:251], v[12:13]
	v_pk_add_f32 v[0:1], v[12:13], v[2:3]
	;; [unrolled: 1-line block ×3, first 2 shown]
	v_pk_add_f32 v[2:3], v[12:13], v[2:3] neg_lo:[0,1] neg_hi:[0,1]
	v_mov_b32_e32 v9, v37
	v_pk_fma_f32 v[0:1], v[0:1], 0.5, v[250:251] op_sel_hi:[1,0,1] neg_lo:[1,0,0] neg_hi:[1,0,0]
	v_pk_mul_f32 v[2:3], v[2:3], s[2:3] op_sel_hi:[1,0]
	ds_write_b64 v10, v[8:9] offset:16
	v_pk_add_f32 v[8:9], v[0:1], v[2:3] op_sel:[0,1] op_sel_hi:[1,0] neg_lo:[0,1] neg_hi:[0,1]
	v_pk_add_f32 v[0:1], v[0:1], v[2:3] op_sel:[0,1] op_sel_hi:[1,0]
	v_mov_b32_e32 v2, v8
	v_mov_b32_e32 v3, v1
	v_accvgpr_read_b32 v8, a68
	ds_write2_b64 v8, v[6:7], v[2:3] offset1:1
	v_pk_add_f32 v[2:3], v[14:15], v[16:17]
	v_pk_add_f32 v[6:7], v[14:15], v[16:17] neg_lo:[0,1] neg_hi:[0,1]
	v_mov_b32_e32 v1, v9
	v_pk_fma_f32 v[2:3], v[2:3], 0.5, v[28:29] op_sel_hi:[1,0,1] neg_lo:[1,0,0] neg_hi:[1,0,0]
	v_pk_mul_f32 v[6:7], v[6:7], s[2:3] op_sel_hi:[1,0]
	ds_write_b64 v8, v[0:1] offset:16
	v_pk_add_f32 v[0:1], v[28:29], v[14:15]
	v_pk_add_f32 v[8:9], v[2:3], v[6:7] op_sel:[0,1] op_sel_hi:[1,0] neg_lo:[0,1] neg_hi:[0,1]
	v_pk_add_f32 v[2:3], v[2:3], v[6:7] op_sel:[0,1] op_sel_hi:[1,0]
	v_pk_add_f32 v[0:1], v[0:1], v[16:17]
	v_mov_b32_e32 v6, v8
	v_mov_b32_e32 v7, v3
	v_accvgpr_read_b32 v8, a67
	ds_write2_b64 v8, v[0:1], v[6:7] offset1:1
	v_pk_add_f32 v[0:1], v[20:21], v[18:19]
	v_pk_add_f32 v[6:7], v[20:21], v[18:19] neg_lo:[0,1] neg_hi:[0,1]
	v_mov_b32_e32 v3, v9
	v_pk_fma_f32 v[0:1], v[0:1], 0.5, v[30:31] op_sel_hi:[1,0,1] neg_lo:[1,0,0] neg_hi:[1,0,0]
	v_pk_mul_f32 v[6:7], v[6:7], s[2:3] op_sel_hi:[1,0]
	ds_write_b64 v8, v[2:3] offset:16
	v_pk_add_f32 v[2:3], v[30:31], v[20:21]
	v_pk_add_f32 v[8:9], v[0:1], v[6:7] op_sel:[0,1] op_sel_hi:[1,0] neg_lo:[0,1] neg_hi:[0,1]
	v_pk_add_f32 v[0:1], v[0:1], v[6:7] op_sel:[0,1] op_sel_hi:[1,0]
	v_pk_add_f32 v[2:3], v[2:3], v[18:19]
	;; [unrolled: 14-line block ×3, first 2 shown]
	v_mov_b32_e32 v6, v8
	v_mov_b32_e32 v7, v3
	v_accvgpr_read_b32 v8, a65
	ds_write2_b64 v8, v[0:1], v[6:7] offset1:1
	v_pk_add_f32 v[0:1], v[32:33], v[26:27]
	v_pk_add_f32 v[6:7], v[32:33], v[26:27] neg_lo:[0,1] neg_hi:[0,1]
	v_mov_b32_e32 v3, v9
	v_pk_fma_f32 v[0:1], v[0:1], 0.5, v[42:43] op_sel_hi:[1,0,1] neg_lo:[1,0,0] neg_hi:[1,0,0]
	v_pk_mul_f32 v[6:7], v[6:7], s[2:3] op_sel_hi:[1,0]
	ds_write_b64 v8, v[2:3] offset:16
	v_pk_add_f32 v[8:9], v[0:1], v[6:7] op_sel:[0,1] op_sel_hi:[1,0] neg_lo:[0,1] neg_hi:[0,1]
	v_pk_add_f32 v[0:1], v[0:1], v[6:7] op_sel:[0,1] op_sel_hi:[1,0]
	v_pk_add_f32 v[2:3], v[42:43], v[32:33]
	v_mov_b32_e32 v6, v8
	v_mov_b32_e32 v7, v1
	v_accvgpr_read_b32 v8, a63
	v_mov_b32_e32 v1, v9
	v_pk_add_f32 v[2:3], v[2:3], v[26:27]
	ds_write_b64 v8, v[0:1] offset:16
	v_pk_add_f32 v[0:1], v[34:35], v[48:49]
	ds_write2_b64 v8, v[2:3], v[6:7] offset1:1
	v_pk_fma_f32 v[0:1], v[0:1], 0.5, v[4:5] op_sel_hi:[1,0,1] neg_lo:[1,0,0] neg_hi:[1,0,0]
	v_pk_add_f32 v[2:3], v[4:5], v[34:35]
	v_pk_add_f32 v[4:5], v[34:35], v[48:49] neg_lo:[0,1] neg_hi:[0,1]
	v_pk_add_f32 v[2:3], v[2:3], v[48:49]
	v_pk_mul_f32 v[4:5], v[4:5], s[2:3] op_sel_hi:[1,0]
	v_accvgpr_read_b32 v8, a70
	v_pk_add_f32 v[6:7], v[0:1], v[4:5] op_sel:[0,1] op_sel_hi:[1,0] neg_lo:[0,1] neg_hi:[0,1]
	v_pk_add_f32 v[0:1], v[0:1], v[4:5] op_sel:[0,1] op_sel_hi:[1,0]
	v_mov_b32_e32 v4, v6
	v_mov_b32_e32 v5, v1
	v_accvgpr_read_b32 v6, a61
	v_mov_b32_e32 v1, v7
	ds_write2_b64 v6, v[2:3], v[4:5] offset1:1
	ds_write_b64 v6, v[0:1] offset:16
	s_waitcnt lgkmcnt(0)
	s_barrier
	ds_read_b64 v[2:3], v216 offset:50544
	v_accvgpr_read_b32 v0, a164
	v_accvgpr_read_b32 v10, a72
	v_accvgpr_read_b32 v9, a71
	v_accvgpr_read_b32 v18, a106
	s_waitcnt lgkmcnt(0)
	v_pk_mul_f32 v[4:5], v[0:1], v[2:3] op_sel_hi:[0,1]
	v_pk_fma_f32 v[0:1], v[10:11], v[2:3], v[4:5] op_sel:[0,0,1] op_sel_hi:[1,1,0]
	v_pk_fma_f32 v[16:17], v[10:11], v[2:3], v[4:5] op_sel:[0,0,1] op_sel_hi:[0,1,0] neg_lo:[0,0,1] neg_hi:[0,0,1]
	ds_read2_b64 v[2:5], v127 offset1:243
	v_accvgpr_read_b32 v20, a108
	v_accvgpr_read_b32 v19, a107
	v_mov_b32_e32 v195, v127
	v_accvgpr_read_b32 v24, a112
	s_waitcnt lgkmcnt(0)
	v_pk_mul_f32 v[6:7], v[8:9], v[4:5] op_sel:[1,0]
	v_accvgpr_read_b32 v26, a114
	v_pk_fma_f32 v[14:15], v[8:9], v[4:5], v[6:7] op_sel:[0,0,1] op_sel_hi:[1,1,0]
	v_pk_fma_f32 v[12:13], v[8:9], v[4:5], v[6:7] op_sel:[0,0,1] op_sel_hi:[0,1,0] neg_lo:[0,0,1] neg_hi:[0,0,1]
	v_accvgpr_read_b32 v8, a118
	v_accvgpr_read_b32 v9, a119
	v_pk_mul_f32 v[4:5], v[8:9], v[2:3] op_sel:[1,0]
	v_accvgpr_read_b32 v6, a122
	v_pk_fma_f32 v[236:237], v[8:9], v[2:3], v[4:5] op_sel:[0,0,1] op_sel_hi:[1,1,0]
	v_pk_fma_f32 v[248:249], v[8:9], v[2:3], v[4:5] op_sel:[0,0,1] op_sel_hi:[0,1,0] neg_lo:[0,0,1] neg_hi:[0,0,1]
	ds_read2_b64 v[2:5], v126 offset0:8 offset1:251
	v_accvgpr_read_b32 v10, a120
	v_accvgpr_read_b32 v25, a113
	v_accvgpr_read_b32 v1, a69
	v_mov_b32_e32 v237, v249
	s_waitcnt lgkmcnt(0)
	v_pk_mul_f32 v[6:7], v[6:7], v[4:5] op_sel_hi:[0,1]
	v_pk_fma_f32 v[8:9], v[10:11], v[4:5], v[6:7] op_sel:[0,0,1] op_sel_hi:[1,1,0]
	v_pk_fma_f32 v[10:11], v[10:11], v[4:5], v[6:7] op_sel:[0,0,1] op_sel_hi:[0,1,0] neg_lo:[0,0,1] neg_hi:[0,0,1]
	v_accvgpr_read_b32 v4, a110
	v_pk_mul_f32 v[4:5], v[4:5], v[2:3] op_sel_hi:[0,1]
	v_pk_fma_f32 v[30:31], v[20:21], v[2:3], v[4:5] op_sel:[0,0,1] op_sel_hi:[1,1,0]
	v_pk_fma_f32 v[32:33], v[20:21], v[2:3], v[4:5] op_sel:[0,0,1] op_sel_hi:[0,1,0] neg_lo:[0,0,1] neg_hi:[0,0,1]
	ds_read2_b64 v[2:5], v111 offset0:10 offset1:253
	v_mov_b32_e32 v31, v33
	v_mov_b32_e32 v9, v11
	v_pk_add_f32 v[10:11], v[236:237], v[8:9] neg_lo:[0,1] neg_hi:[0,1]
	v_mov_b32_e32 v15, v13
	s_waitcnt lgkmcnt(0)
	v_pk_mul_f32 v[6:7], v[18:19], v[4:5] op_sel:[1,0]
	v_pk_mul_f32 v[10:11], v[10:11], s[2:3] op_sel_hi:[1,0]
	v_pk_fma_f32 v[34:35], v[18:19], v[4:5], v[6:7] op_sel:[0,0,1] op_sel_hi:[1,1,0]
	v_pk_fma_f32 v[36:37], v[18:19], v[4:5], v[6:7] op_sel:[0,0,1] op_sel_hi:[0,1,0] neg_lo:[0,0,1] neg_hi:[0,0,1]
	v_accvgpr_read_b32 v18, a100
	v_accvgpr_read_b32 v19, a101
	v_pk_mul_f32 v[4:5], v[18:19], v[2:3] op_sel:[1,0]
	v_accvgpr_read_b32 v6, a104
	v_pk_fma_f32 v[38:39], v[18:19], v[2:3], v[4:5] op_sel:[0,0,1] op_sel_hi:[1,1,0]
	v_pk_fma_f32 v[40:41], v[18:19], v[2:3], v[4:5] op_sel:[0,0,1] op_sel_hi:[0,1,0] neg_lo:[0,0,1] neg_hi:[0,0,1]
	ds_read2_b64 v[2:5], v223 offset0:2 offset1:245
	v_accvgpr_read_b32 v20, a102
	v_mov_b32_e32 v39, v41
	v_mov_b32_e32 v35, v37
	s_waitcnt lgkmcnt(0)
	v_pk_mul_f32 v[6:7], v[6:7], v[4:5] op_sel_hi:[0,1]
	v_pk_fma_f32 v[42:43], v[20:21], v[4:5], v[6:7] op_sel:[0,0,1] op_sel_hi:[1,1,0]
	v_pk_fma_f32 v[44:45], v[20:21], v[4:5], v[6:7] op_sel:[0,0,1] op_sel_hi:[0,1,0] neg_lo:[0,0,1] neg_hi:[0,0,1]
	v_accvgpr_read_b32 v4, a98
	v_accvgpr_read_b32 v18, a94
	v_pk_mul_f32 v[4:5], v[4:5], v[2:3] op_sel_hi:[0,1]
	v_accvgpr_read_b32 v20, a96
	v_pk_fma_f32 v[46:47], v[20:21], v[2:3], v[4:5] op_sel:[0,0,1] op_sel_hi:[1,1,0]
	v_pk_fma_f32 v[48:49], v[20:21], v[2:3], v[4:5] op_sel:[0,0,1] op_sel_hi:[0,1,0] neg_lo:[0,0,1] neg_hi:[0,0,1]
	ds_read2_b64 v[2:5], v209 offset0:4 offset1:247
	v_accvgpr_read_b32 v19, a95
	v_mov_b32_e32 v47, v49
	v_mov_b32_e32 v43, v45
	s_waitcnt lgkmcnt(0)
	v_pk_mul_f32 v[6:7], v[18:19], v[4:5] op_sel:[1,0]
	s_nop 0
	v_pk_fma_f32 v[54:55], v[18:19], v[4:5], v[6:7] op_sel:[0,0,1] op_sel_hi:[1,1,0]
	v_pk_fma_f32 v[124:125], v[18:19], v[4:5], v[6:7] op_sel:[0,0,1] op_sel_hi:[0,1,0] neg_lo:[0,0,1] neg_hi:[0,0,1]
	v_accvgpr_read_b32 v18, a88
	v_accvgpr_read_b32 v19, a89
	v_pk_mul_f32 v[4:5], v[18:19], v[2:3] op_sel:[1,0]
	v_accvgpr_read_b32 v6, a92
	v_pk_fma_f32 v[132:133], v[18:19], v[2:3], v[4:5] op_sel:[0,0,1] op_sel_hi:[1,1,0]
	v_pk_fma_f32 v[134:135], v[18:19], v[2:3], v[4:5] op_sel:[0,0,1] op_sel_hi:[0,1,0] neg_lo:[0,0,1] neg_hi:[0,0,1]
	ds_read2_b64 v[2:5], v227 offset0:12 offset1:255
	v_accvgpr_read_b32 v20, a90
	v_mov_b32_e32 v133, v135
	v_mov_b32_e32 v55, v125
	s_waitcnt lgkmcnt(0)
	v_pk_mul_f32 v[6:7], v[6:7], v[4:5] op_sel_hi:[0,1]
	v_pk_fma_f32 v[238:239], v[20:21], v[4:5], v[6:7] op_sel:[0,0,1] op_sel_hi:[1,1,0]
	v_pk_fma_f32 v[240:241], v[20:21], v[4:5], v[6:7] op_sel:[0,0,1] op_sel_hi:[0,1,0] neg_lo:[0,0,1] neg_hi:[0,0,1]
	v_accvgpr_read_b32 v4, a86
	v_accvgpr_read_b32 v18, a82
	v_pk_mul_f32 v[4:5], v[4:5], v[2:3] op_sel_hi:[0,1]
	v_accvgpr_read_b32 v20, a84
	v_pk_fma_f32 v[242:243], v[20:21], v[2:3], v[4:5] op_sel:[0,0,1] op_sel_hi:[1,1,0]
	v_pk_fma_f32 v[244:245], v[20:21], v[2:3], v[4:5] op_sel:[0,0,1] op_sel_hi:[0,1,0] neg_lo:[0,0,1] neg_hi:[0,0,1]
	ds_read2_b64 v[2:5], v119 offset0:6 offset1:249
	v_accvgpr_read_b32 v19, a83
	v_mov_b32_e32 v243, v245
	v_mov_b32_e32 v239, v241
	s_waitcnt lgkmcnt(0)
	v_pk_mul_f32 v[6:7], v[18:19], v[4:5] op_sel:[1,0]
	s_nop 0
	v_pk_fma_f32 v[246:247], v[18:19], v[4:5], v[6:7] op_sel:[0,0,1] op_sel_hi:[1,1,0]
	v_pk_fma_f32 v[250:251], v[18:19], v[4:5], v[6:7] op_sel:[0,0,1] op_sel_hi:[0,1,0] neg_lo:[0,0,1] neg_hi:[0,0,1]
	v_accvgpr_read_b32 v18, a76
	v_accvgpr_read_b32 v19, a77
	v_pk_mul_f32 v[4:5], v[18:19], v[2:3] op_sel:[1,0]
	v_accvgpr_read_b32 v6, a80
	v_pk_fma_f32 v[252:253], v[18:19], v[2:3], v[4:5] op_sel:[0,0,1] op_sel_hi:[1,1,0]
	v_pk_fma_f32 v[254:255], v[18:19], v[2:3], v[4:5] op_sel:[0,0,1] op_sel_hi:[0,1,0] neg_lo:[0,0,1] neg_hi:[0,0,1]
	ds_read2_b64 v[2:5], v199 offset0:6 offset1:249
	v_accvgpr_read_b32 v20, a78
	v_mov_b32_e32 v253, v255
	v_mov_b32_e32 v247, v251
	s_waitcnt lgkmcnt(0)
	v_pk_mul_f32 v[6:7], v[6:7], v[4:5] op_sel_hi:[0,1]
	v_pk_fma_f32 v[126:127], v[20:21], v[4:5], v[6:7] op_sel:[0,0,1] op_sel_hi:[1,1,0]
	v_pk_fma_f32 v[196:197], v[20:21], v[4:5], v[6:7] op_sel:[0,0,1] op_sel_hi:[0,1,0] neg_lo:[0,0,1] neg_hi:[0,0,1]
	v_accvgpr_read_b32 v4, a116
	v_pk_mul_f32 v[4:5], v[4:5], v[2:3] op_sel_hi:[0,1]
	v_pk_fma_f32 v[18:19], v[26:27], v[2:3], v[4:5] op_sel:[0,0,1] op_sel_hi:[1,1,0]
	v_pk_fma_f32 v[6:7], v[26:27], v[2:3], v[4:5] op_sel:[0,0,1] op_sel_hi:[0,1,0] neg_lo:[0,0,1] neg_hi:[0,0,1]
	ds_read2_b64 v[2:5], v115 offset0:8 offset1:251
	v_mov_b32_e32 v19, v7
	v_mov_b32_e32 v127, v197
	v_pk_add_f32 v[196:197], v[252:253], v[126:127] neg_lo:[0,1] neg_hi:[0,1]
	s_waitcnt lgkmcnt(0)
	v_pk_mul_f32 v[20:21], v[24:25], v[4:5] op_sel:[1,0]
	s_nop 0
	v_pk_fma_f32 v[22:23], v[24:25], v[4:5], v[20:21] op_sel:[0,0,1] op_sel_hi:[1,1,0]
	v_pk_fma_f32 v[4:5], v[24:25], v[4:5], v[20:21] op_sel:[0,0,1] op_sel_hi:[0,1,0] neg_lo:[0,0,1] neg_hi:[0,0,1]
	v_mov_b32_e32 v23, v5
	ds_read2_b64 v[4:7], v216 offset1:243
	v_pk_mul_f32 v[196:197], v[196:197], s[2:3] op_sel_hi:[1,0]
	s_waitcnt lgkmcnt(0)
	v_pk_add_f32 v[20:21], v[4:5], v[22:23]
	s_nop 0
	v_pk_add_f32 v[198:199], v[20:21], v[18:19]
	v_pk_add_f32 v[20:21], v[22:23], v[18:19]
	v_pk_add_f32 v[18:19], v[22:23], v[18:19] neg_lo:[0,1] neg_hi:[0,1]
	v_pk_fma_f32 v[4:5], v[20:21], 0.5, v[4:5] op_sel_hi:[1,0,1] neg_lo:[1,0,0] neg_hi:[1,0,0]
	v_pk_mul_f32 v[18:19], v[18:19], s[2:3] op_sel_hi:[1,0]
	s_nop 0
	v_pk_add_f32 v[208:209], v[4:5], v[18:19] op_sel:[0,1] op_sel_hi:[1,0] neg_lo:[0,1] neg_hi:[0,1]
	v_pk_add_f32 v[4:5], v[4:5], v[18:19] op_sel:[0,1] op_sel_hi:[1,0]
	ds_read2_b64 v[18:21], v203 offset0:2 offset1:245
	ds_read2_b64 v[22:25], v107 offset0:12 offset1:255
	;; [unrolled: 1-line block ×3, first 2 shown]
	v_mov_b32_e32 v211, v5
	v_mov_b32_e32 v5, v209
	s_waitcnt lgkmcnt(0)
	s_barrier
	ds_write_b64 v1, v[4:5] offset:48
	v_pk_add_f32 v[4:5], v[252:253], v[126:127]
	v_mov_b32_e32 v210, v208
	v_pk_fma_f32 v[4:5], v[4:5], 0.5, v[6:7] op_sel_hi:[1,0,1] neg_lo:[1,0,0] neg_hi:[1,0,0]
	ds_write2_b64 v1, v[198:199], v[210:211] offset1:3
	v_pk_add_f32 v[6:7], v[6:7], v[252:253]
	v_pk_add_f32 v[198:199], v[4:5], v[196:197] op_sel:[0,1] op_sel_hi:[1,0]
	v_pk_add_f32 v[4:5], v[4:5], v[196:197] op_sel:[0,1] op_sel_hi:[1,0] neg_lo:[0,1] neg_hi:[0,1]
	v_pk_add_f32 v[6:7], v[6:7], v[126:127]
	v_mov_b32_e32 v126, v4
	v_mov_b32_e32 v127, v199
	v_accvgpr_read_b32 v1, a73
	ds_write2_b64 v1, v[6:7], v[126:127] offset1:3
	v_mov_b32_e32 v199, v5
	v_pk_add_f32 v[4:5], v[246:247], v[242:243]
	v_pk_add_f32 v[6:7], v[246:247], v[242:243] neg_lo:[0,1] neg_hi:[0,1]
	v_pk_fma_f32 v[4:5], v[4:5], 0.5, v[26:27] op_sel_hi:[1,0,1] neg_lo:[1,0,0] neg_hi:[1,0,0]
	v_pk_mul_f32 v[6:7], v[6:7], s[2:3] op_sel_hi:[1,0]
	ds_write_b64 v1, v[198:199] offset:48
	v_pk_add_f32 v[126:127], v[4:5], v[6:7] op_sel:[0,1] op_sel_hi:[1,0]
	v_pk_add_f32 v[4:5], v[4:5], v[6:7] op_sel:[0,1] op_sel_hi:[1,0] neg_lo:[0,1] neg_hi:[0,1]
	v_pk_add_f32 v[6:7], v[26:27], v[246:247]
	v_mov_b32_e32 v26, v4
	v_pk_add_f32 v[6:7], v[6:7], v[242:243]
	v_mov_b32_e32 v27, v127
	v_accvgpr_read_b32 v1, a75
	ds_write2_b64 v1, v[6:7], v[26:27] offset1:3
	v_mov_b32_e32 v127, v5
	v_pk_add_f32 v[4:5], v[132:133], v[238:239]
	v_pk_add_f32 v[26:27], v[132:133], v[238:239] neg_lo:[0,1] neg_hi:[0,1]
	v_pk_fma_f32 v[4:5], v[4:5], 0.5, v[28:29] op_sel_hi:[1,0,1] neg_lo:[1,0,0] neg_hi:[1,0,0]
	v_pk_mul_f32 v[26:27], v[26:27], s[2:3] op_sel_hi:[1,0]
	v_pk_add_f32 v[6:7], v[28:29], v[132:133]
	v_pk_add_f32 v[28:29], v[4:5], v[26:27] op_sel:[0,1] op_sel_hi:[1,0]
	v_pk_add_f32 v[4:5], v[4:5], v[26:27] op_sel:[0,1] op_sel_hi:[1,0] neg_lo:[0,1] neg_hi:[0,1]
	ds_write_b64 v1, v[126:127] offset:48
	v_pk_add_f32 v[6:7], v[6:7], v[238:239]
	v_mov_b32_e32 v26, v4
	v_mov_b32_e32 v27, v29
	v_accvgpr_read_b32 v1, a79
	ds_write2_b64 v1, v[6:7], v[26:27] offset1:3
	v_mov_b32_e32 v29, v5
	v_pk_add_f32 v[4:5], v[54:55], v[46:47]
	v_pk_add_f32 v[6:7], v[54:55], v[46:47] neg_lo:[0,1] neg_hi:[0,1]
	v_pk_fma_f32 v[4:5], v[4:5], 0.5, v[22:23] op_sel_hi:[1,0,1] neg_lo:[1,0,0] neg_hi:[1,0,0]
	v_pk_mul_f32 v[6:7], v[6:7], s[2:3] op_sel_hi:[1,0]
	ds_write_b64 v1, v[28:29] offset:48
	v_pk_add_f32 v[26:27], v[4:5], v[6:7] op_sel:[0,1] op_sel_hi:[1,0]
	v_pk_add_f32 v[4:5], v[4:5], v[6:7] op_sel:[0,1] op_sel_hi:[1,0] neg_lo:[0,1] neg_hi:[0,1]
	v_pk_add_f32 v[6:7], v[22:23], v[54:55]
	v_mov_b32_e32 v22, v4
	v_pk_add_f32 v[6:7], v[6:7], v[46:47]
	v_mov_b32_e32 v23, v27
	v_accvgpr_read_b32 v1, a81
	ds_write2_b64 v1, v[6:7], v[22:23] offset1:3
	v_mov_b32_e32 v27, v5
	v_pk_add_f32 v[4:5], v[38:39], v[42:43]
	v_pk_add_f32 v[22:23], v[38:39], v[42:43] neg_lo:[0,1] neg_hi:[0,1]
	v_pk_fma_f32 v[4:5], v[4:5], 0.5, v[24:25] op_sel_hi:[1,0,1] neg_lo:[1,0,0] neg_hi:[1,0,0]
	v_pk_mul_f32 v[22:23], v[22:23], s[2:3] op_sel_hi:[1,0]
	v_pk_add_f32 v[6:7], v[24:25], v[38:39]
	v_pk_add_f32 v[24:25], v[4:5], v[22:23] op_sel:[0,1] op_sel_hi:[1,0]
	v_pk_add_f32 v[4:5], v[4:5], v[22:23] op_sel:[0,1] op_sel_hi:[1,0] neg_lo:[0,1] neg_hi:[0,1]
	ds_write_b64 v1, v[26:27] offset:48
	v_pk_add_f32 v[6:7], v[6:7], v[42:43]
	v_mov_b32_e32 v22, v4
	v_mov_b32_e32 v23, v25
	v_accvgpr_read_b32 v1, a85
	ds_write2_b64 v1, v[6:7], v[22:23] offset1:3
	v_mov_b32_e32 v25, v5
	v_pk_add_f32 v[4:5], v[34:35], v[30:31]
	v_pk_add_f32 v[6:7], v[34:35], v[30:31] neg_lo:[0,1] neg_hi:[0,1]
	v_pk_fma_f32 v[4:5], v[4:5], 0.5, v[18:19] op_sel_hi:[1,0,1] neg_lo:[1,0,0] neg_hi:[1,0,0]
	v_pk_mul_f32 v[6:7], v[6:7], s[2:3] op_sel_hi:[1,0]
	ds_write_b64 v1, v[24:25] offset:48
	v_pk_add_f32 v[22:23], v[4:5], v[6:7] op_sel:[0,1] op_sel_hi:[1,0]
	v_pk_add_f32 v[4:5], v[4:5], v[6:7] op_sel:[0,1] op_sel_hi:[1,0] neg_lo:[0,1] neg_hi:[0,1]
	v_pk_add_f32 v[6:7], v[18:19], v[34:35]
	v_mov_b32_e32 v18, v4
	v_mov_b32_e32 v19, v23
	;; [unrolled: 1-line block ×3, first 2 shown]
	v_pk_add_f32 v[4:5], v[236:237], v[8:9]
	v_pk_add_f32 v[6:7], v[6:7], v[30:31]
	v_accvgpr_read_b32 v1, a87
	v_pk_fma_f32 v[4:5], v[4:5], 0.5, v[20:21] op_sel_hi:[1,0,1] neg_lo:[1,0,0] neg_hi:[1,0,0]
	ds_write2_b64 v1, v[6:7], v[18:19] offset1:3
	v_pk_add_f32 v[6:7], v[20:21], v[236:237]
	v_pk_add_f32 v[18:19], v[4:5], v[10:11] op_sel:[0,1] op_sel_hi:[1,0]
	v_pk_add_f32 v[4:5], v[4:5], v[10:11] op_sel:[0,1] op_sel_hi:[1,0] neg_lo:[0,1] neg_hi:[0,1]
	ds_write_b64 v1, v[22:23] offset:48
	v_pk_add_f32 v[6:7], v[6:7], v[8:9]
	v_mov_b32_e32 v8, v4
	v_mov_b32_e32 v9, v19
	v_accvgpr_read_b32 v1, a91
	v_mov_b32_e32 v19, v5
	ds_write2_b64 v1, v[6:7], v[8:9] offset1:3
	ds_write_b64 v1, v[18:19] offset:48
	v_mov_b32_e32 v1, v17
	v_pk_add_f32 v[4:5], v[14:15], v[0:1]
	v_accvgpr_read_b32 v8, a124
	v_pk_fma_f32 v[4:5], v[4:5], 0.5, v[2:3] op_sel_hi:[1,0,1] neg_lo:[1,0,0] neg_hi:[1,0,0]
	v_pk_add_f32 v[2:3], v[2:3], v[14:15]
	v_accvgpr_read_b32 v9, a125
	v_pk_add_f32 v[2:3], v[2:3], v[0:1]
	v_pk_add_f32 v[0:1], v[14:15], v[0:1] neg_lo:[0,1] neg_hi:[0,1]
	v_accvgpr_read_b32 v10, a126
	v_pk_mul_f32 v[0:1], v[0:1], s[2:3] op_sel_hi:[1,0]
	v_accvgpr_read_b32 v24, a140
	v_pk_add_f32 v[6:7], v[4:5], v[0:1] op_sel:[0,1] op_sel_hi:[1,0] neg_lo:[0,1] neg_hi:[0,1]
	v_pk_add_f32 v[0:1], v[4:5], v[0:1] op_sel:[0,1] op_sel_hi:[1,0]
	v_mov_b32_e32 v4, v6
	v_mov_b32_e32 v5, v1
	v_accvgpr_read_b32 v6, a93
	v_mov_b32_e32 v1, v7
	ds_write2_b64 v6, v[2:3], v[4:5] offset1:3
	ds_write_b64 v6, v[0:1] offset:48
	s_waitcnt lgkmcnt(0)
	s_barrier
	ds_read_b64 v[2:3], v216 offset:50544
	ds_read2_b64 v[12:15], v195 offset1:243
	v_accvgpr_read_b32 v0, a188
	ds_read2_b64 v[18:21], v207 offset0:8 offset1:251
	v_accvgpr_read_b32 v26, a142
	s_waitcnt lgkmcnt(2)
	v_pk_mul_f32 v[4:5], v[0:1], v[2:3] op_sel_hi:[0,1]
	v_pk_fma_f32 v[0:1], v[10:11], v[2:3], v[4:5] op_sel:[0,0,1] op_sel_hi:[1,1,0]
	v_pk_fma_f32 v[6:7], v[10:11], v[2:3], v[4:5] op_sel:[0,0,1] op_sel_hi:[0,1,0] neg_lo:[0,0,1] neg_hi:[0,0,1]
	s_waitcnt lgkmcnt(1)
	v_pk_mul_f32 v[2:3], v[8:9], v[14:15] op_sel:[1,0]
	v_accvgpr_read_b32 v25, a141
	v_pk_fma_f32 v[4:5], v[8:9], v[14:15], v[2:3] op_sel:[0,0,1] op_sel_hi:[1,1,0]
	v_pk_fma_f32 v[8:9], v[8:9], v[14:15], v[2:3] op_sel:[0,0,1] op_sel_hi:[0,1,0] neg_lo:[0,0,1] neg_hi:[0,0,1]
	v_accvgpr_read_b32 v14, a146
	v_accvgpr_read_b32 v15, a147
	v_pk_mul_f32 v[2:3], v[14:15], v[12:13] op_sel:[1,0]
	v_accvgpr_read_b32 v16, a148
	v_pk_fma_f32 v[10:11], v[14:15], v[12:13], v[2:3] op_sel:[0,0,1] op_sel_hi:[1,1,0]
	v_pk_fma_f32 v[14:15], v[14:15], v[12:13], v[2:3] op_sel:[0,0,1] op_sel_hi:[0,1,0] neg_lo:[0,0,1] neg_hi:[0,0,1]
	v_accvgpr_read_b32 v2, a150
	s_waitcnt lgkmcnt(0)
	v_pk_mul_f32 v[2:3], v[2:3], v[20:21] op_sel_hi:[0,1]
	v_pk_fma_f32 v[12:13], v[16:17], v[20:21], v[2:3] op_sel:[0,0,1] op_sel_hi:[1,1,0]
	v_pk_fma_f32 v[16:17], v[16:17], v[20:21], v[2:3] op_sel:[0,0,1] op_sel_hi:[0,1,0] neg_lo:[0,0,1] neg_hi:[0,0,1]
	v_accvgpr_read_b32 v2, a144
	v_pk_mul_f32 v[2:3], v[2:3], v[18:19] op_sel_hi:[0,1]
	v_pk_fma_f32 v[36:37], v[26:27], v[18:19], v[2:3] op_sel:[0,0,1] op_sel_hi:[1,1,0]
	v_pk_fma_f32 v[2:3], v[26:27], v[18:19], v[2:3] op_sel:[0,0,1] op_sel_hi:[0,1,0] neg_lo:[0,0,1] neg_hi:[0,0,1]
	ds_read2_b64 v[18:21], v111 offset0:10 offset1:253
	v_accvgpr_read_b32 v2, a138
	v_accvgpr_read_b32 v30, a168
	;; [unrolled: 1-line block ×4, first 2 shown]
	s_waitcnt lgkmcnt(0)
	v_pk_mul_f32 v[22:23], v[24:25], v[20:21] op_sel:[1,0]
	v_accvgpr_read_b32 v1, a97
	v_pk_fma_f32 v[38:39], v[24:25], v[20:21], v[22:23] op_sel:[0,0,1] op_sel_hi:[1,1,0]
	v_pk_fma_f32 v[40:41], v[24:25], v[20:21], v[22:23] op_sel:[0,0,1] op_sel_hi:[0,1,0] neg_lo:[0,0,1] neg_hi:[0,0,1]
	v_accvgpr_read_b32 v22, a134
	v_accvgpr_read_b32 v23, a135
	v_pk_mul_f32 v[20:21], v[22:23], v[18:19] op_sel:[1,0]
	v_accvgpr_read_b32 v24, a136
	v_pk_fma_f32 v[42:43], v[22:23], v[18:19], v[20:21] op_sel:[0,0,1] op_sel_hi:[1,1,0]
	v_pk_fma_f32 v[44:45], v[22:23], v[18:19], v[20:21] op_sel:[0,0,1] op_sel_hi:[0,1,0] neg_lo:[0,0,1] neg_hi:[0,0,1]
	ds_read2_b64 v[18:21], v223 offset0:2 offset1:245
	v_mov_b32_e32 v43, v45
	v_mov_b32_e32 v39, v41
	;; [unrolled: 1-line block ×4, first 2 shown]
	s_waitcnt lgkmcnt(0)
	v_pk_mul_f32 v[22:23], v[2:3], v[20:21] op_sel_hi:[0,1]
	v_pk_fma_f32 v[46:47], v[24:25], v[20:21], v[22:23] op_sel:[0,0,1] op_sel_hi:[1,1,0]
	v_pk_fma_f32 v[48:49], v[24:25], v[20:21], v[22:23] op_sel:[0,0,1] op_sel_hi:[0,1,0] neg_lo:[0,0,1] neg_hi:[0,0,1]
	v_accvgpr_read_b32 v2, a152
	v_accvgpr_read_b32 v24, a130
	v_pk_mul_f32 v[20:21], v[2:3], v[18:19] op_sel_hi:[0,1]
	v_accvgpr_read_b32 v26, a132
	v_pk_fma_f32 v[54:55], v[26:27], v[18:19], v[20:21] op_sel:[0,0,1] op_sel_hi:[1,1,0]
	v_pk_fma_f32 v[124:125], v[26:27], v[18:19], v[20:21] op_sel:[0,0,1] op_sel_hi:[0,1,0] neg_lo:[0,0,1] neg_hi:[0,0,1]
	ds_read2_b64 v[18:21], v167 offset0:4 offset1:247
	v_accvgpr_read_b32 v25, a131
	v_accvgpr_read_b32 v2, a162
	v_mov_b32_e32 v55, v125
	v_mov_b32_e32 v47, v49
	s_waitcnt lgkmcnt(0)
	v_pk_mul_f32 v[22:23], v[24:25], v[20:21] op_sel:[1,0]
	v_mov_b32_e32 v13, v17
	v_pk_fma_f32 v[126:127], v[24:25], v[20:21], v[22:23] op_sel:[0,0,1] op_sel_hi:[1,1,0]
	v_pk_fma_f32 v[132:133], v[24:25], v[20:21], v[22:23] op_sel:[0,0,1] op_sel_hi:[0,1,0] neg_lo:[0,0,1] neg_hi:[0,0,1]
	v_accvgpr_read_b32 v22, a158
	v_accvgpr_read_b32 v23, a159
	v_pk_mul_f32 v[20:21], v[22:23], v[18:19] op_sel:[1,0]
	v_accvgpr_read_b32 v24, a160
	v_pk_fma_f32 v[134:135], v[22:23], v[18:19], v[20:21] op_sel:[0,0,1] op_sel_hi:[1,1,0]
	v_pk_fma_f32 v[196:197], v[22:23], v[18:19], v[20:21] op_sel:[0,0,1] op_sel_hi:[0,1,0] neg_lo:[0,0,1] neg_hi:[0,0,1]
	ds_read2_b64 v[18:21], v227 offset0:12 offset1:255
	v_mov_b32_e32 v135, v197
	v_mov_b32_e32 v127, v133
	;; [unrolled: 1-line block ×3, first 2 shown]
	s_waitcnt lgkmcnt(0)
	v_pk_mul_f32 v[22:23], v[2:3], v[20:21] op_sel_hi:[0,1]
	v_pk_fma_f32 v[198:199], v[24:25], v[20:21], v[22:23] op_sel:[0,0,1] op_sel_hi:[1,1,0]
	v_pk_fma_f32 v[208:209], v[24:25], v[20:21], v[22:23] op_sel:[0,0,1] op_sel_hi:[0,1,0] neg_lo:[0,0,1] neg_hi:[0,0,1]
	v_accvgpr_read_b32 v2, a166
	v_accvgpr_read_b32 v24, a154
	v_pk_mul_f32 v[20:21], v[2:3], v[18:19] op_sel_hi:[0,1]
	v_accvgpr_read_b32 v26, a156
	v_pk_fma_f32 v[210:211], v[26:27], v[18:19], v[20:21] op_sel:[0,0,1] op_sel_hi:[1,1,0]
	v_pk_fma_f32 v[236:237], v[26:27], v[18:19], v[20:21] op_sel:[0,0,1] op_sel_hi:[0,1,0] neg_lo:[0,0,1] neg_hi:[0,0,1]
	ds_read2_b64 v[18:21], v119 offset0:6 offset1:249
	v_accvgpr_read_b32 v25, a155
	v_accvgpr_read_b32 v2, a176
	v_mov_b32_e32 v211, v237
	v_mov_b32_e32 v199, v209
	s_waitcnt lgkmcnt(0)
	v_pk_mul_f32 v[22:23], v[24:25], v[20:21] op_sel:[1,0]
	s_nop 0
	v_pk_fma_f32 v[238:239], v[24:25], v[20:21], v[22:23] op_sel:[0,0,1] op_sel_hi:[1,1,0]
	v_pk_fma_f32 v[240:241], v[24:25], v[20:21], v[22:23] op_sel:[0,0,1] op_sel_hi:[0,1,0] neg_lo:[0,0,1] neg_hi:[0,0,1]
	v_accvgpr_read_b32 v22, a172
	v_accvgpr_read_b32 v23, a173
	v_pk_mul_f32 v[20:21], v[22:23], v[18:19] op_sel:[1,0]
	v_accvgpr_read_b32 v24, a174
	v_pk_fma_f32 v[242:243], v[22:23], v[18:19], v[20:21] op_sel:[0,0,1] op_sel_hi:[1,1,0]
	v_pk_fma_f32 v[244:245], v[22:23], v[18:19], v[20:21] op_sel:[0,0,1] op_sel_hi:[0,1,0] neg_lo:[0,0,1] neg_hi:[0,0,1]
	ds_read2_b64 v[18:21], v59 offset0:6 offset1:249
	v_mov_b32_e32 v243, v245
	v_mov_b32_e32 v239, v241
	s_waitcnt lgkmcnt(0)
	v_pk_mul_f32 v[22:23], v[2:3], v[20:21] op_sel_hi:[0,1]
	v_accvgpr_read_b32 v2, a178
	v_pk_fma_f32 v[246:247], v[24:25], v[20:21], v[22:23] op_sel:[0,0,1] op_sel_hi:[1,1,0]
	v_pk_fma_f32 v[248:249], v[24:25], v[20:21], v[22:23] op_sel:[0,0,1] op_sel_hi:[0,1,0] neg_lo:[0,0,1] neg_hi:[0,0,1]
	v_pk_mul_f32 v[20:21], v[2:3], v[18:19] op_sel_hi:[0,1]
	v_pk_fma_f32 v[24:25], v[32:33], v[18:19], v[20:21] op_sel:[0,0,1] op_sel_hi:[1,1,0]
	v_pk_fma_f32 v[22:23], v[32:33], v[18:19], v[20:21] op_sel:[0,0,1] op_sel_hi:[0,1,0] neg_lo:[0,0,1] neg_hi:[0,0,1]
	ds_read2_b64 v[18:21], v115 offset0:8 offset1:251
	v_mov_b32_e32 v25, v23
	v_mov_b32_e32 v247, v249
	v_pk_add_f32 v[2:3], v[38:39], v[36:37]
	s_waitcnt lgkmcnt(0)
	v_pk_mul_f32 v[26:27], v[30:31], v[20:21] op_sel:[1,0]
	s_nop 0
	v_pk_fma_f32 v[28:29], v[30:31], v[20:21], v[26:27] op_sel:[0,0,1] op_sel_hi:[1,1,0]
	v_pk_fma_f32 v[20:21], v[30:31], v[20:21], v[26:27] op_sel:[0,0,1] op_sel_hi:[0,1,0] neg_lo:[0,0,1] neg_hi:[0,0,1]
	v_mov_b32_e32 v29, v21
	ds_read2_b64 v[20:23], v216 offset1:243
	s_waitcnt lgkmcnt(0)
	v_pk_add_f32 v[26:27], v[20:21], v[28:29]
	s_nop 0
	v_pk_add_f32 v[250:251], v[26:27], v[24:25]
	v_pk_add_f32 v[26:27], v[28:29], v[24:25]
	v_pk_add_f32 v[24:25], v[28:29], v[24:25] neg_lo:[0,1] neg_hi:[0,1]
	v_pk_fma_f32 v[20:21], v[26:27], 0.5, v[20:21] op_sel_hi:[1,0,1] neg_lo:[1,0,0] neg_hi:[1,0,0]
	v_pk_mul_f32 v[24:25], v[24:25], s[2:3] op_sel_hi:[1,0]
	s_nop 0
	v_pk_add_f32 v[252:253], v[20:21], v[24:25] op_sel:[0,1] op_sel_hi:[1,0] neg_lo:[0,1] neg_hi:[0,1]
	v_pk_add_f32 v[20:21], v[20:21], v[24:25] op_sel:[0,1] op_sel_hi:[1,0]
	ds_read2_b64 v[24:27], v203 offset0:2 offset1:245
	ds_read2_b64 v[28:31], v107 offset0:12 offset1:255
	;; [unrolled: 1-line block ×3, first 2 shown]
	v_mov_b32_e32 v255, v21
	v_mov_b32_e32 v21, v253
	s_waitcnt lgkmcnt(0)
	s_barrier
	ds_write_b64 v1, v[20:21] offset:144
	v_pk_add_f32 v[20:21], v[242:243], v[246:247]
	v_mov_b32_e32 v254, v252
	v_pk_fma_f32 v[20:21], v[20:21], 0.5, v[22:23] op_sel_hi:[1,0,1] neg_lo:[1,0,0] neg_hi:[1,0,0]
	v_pk_add_f32 v[22:23], v[22:23], v[242:243]
	v_pk_add_f32 v[242:243], v[242:243], v[246:247] neg_lo:[0,1] neg_hi:[0,1]
	ds_write2_b64 v1, v[250:251], v[254:255] offset1:9
	v_pk_mul_f32 v[242:243], v[242:243], s[2:3] op_sel_hi:[1,0]
	v_pk_add_f32 v[22:23], v[22:23], v[246:247]
	v_pk_add_f32 v[244:245], v[20:21], v[242:243] op_sel:[0,1] op_sel_hi:[1,0]
	v_pk_add_f32 v[20:21], v[20:21], v[242:243] op_sel:[0,1] op_sel_hi:[1,0] neg_lo:[0,1] neg_hi:[0,1]
	v_mov_b32_e32 v243, v245
	v_mov_b32_e32 v242, v20
	v_accvgpr_read_b32 v1, a99
	ds_write2_b64 v1, v[22:23], v[242:243] offset1:9
	v_mov_b32_e32 v245, v21
	v_pk_add_f32 v[20:21], v[238:239], v[210:211]
	v_pk_add_f32 v[22:23], v[238:239], v[210:211] neg_lo:[0,1] neg_hi:[0,1]
	v_pk_fma_f32 v[20:21], v[20:21], 0.5, v[32:33] op_sel_hi:[1,0,1] neg_lo:[1,0,0] neg_hi:[1,0,0]
	v_pk_mul_f32 v[22:23], v[22:23], s[2:3] op_sel_hi:[1,0]
	ds_write_b64 v1, v[244:245] offset:144
	v_pk_add_f32 v[236:237], v[20:21], v[22:23] op_sel:[0,1] op_sel_hi:[1,0]
	v_pk_add_f32 v[20:21], v[20:21], v[22:23] op_sel:[0,1] op_sel_hi:[1,0] neg_lo:[0,1] neg_hi:[0,1]
	v_pk_add_f32 v[22:23], v[32:33], v[238:239]
	v_mov_b32_e32 v32, v20
	v_pk_add_f32 v[22:23], v[22:23], v[210:211]
	v_mov_b32_e32 v33, v237
	v_accvgpr_read_b32 v1, a103
	ds_write2_b64 v1, v[22:23], v[32:33] offset1:9
	v_mov_b32_e32 v237, v21
	v_pk_add_f32 v[20:21], v[134:135], v[198:199]
	v_pk_add_f32 v[32:33], v[134:135], v[198:199] neg_lo:[0,1] neg_hi:[0,1]
	v_pk_fma_f32 v[20:21], v[20:21], 0.5, v[34:35] op_sel_hi:[1,0,1] neg_lo:[1,0,0] neg_hi:[1,0,0]
	v_pk_mul_f32 v[32:33], v[32:33], s[2:3] op_sel_hi:[1,0]
	v_pk_add_f32 v[22:23], v[34:35], v[134:135]
	v_pk_add_f32 v[34:35], v[20:21], v[32:33] op_sel:[0,1] op_sel_hi:[1,0]
	v_pk_add_f32 v[20:21], v[20:21], v[32:33] op_sel:[0,1] op_sel_hi:[1,0] neg_lo:[0,1] neg_hi:[0,1]
	ds_write_b64 v1, v[236:237] offset:144
	v_pk_add_f32 v[22:23], v[22:23], v[198:199]
	v_mov_b32_e32 v32, v20
	v_mov_b32_e32 v33, v35
	v_accvgpr_read_b32 v1, a105
	ds_write2_b64 v1, v[22:23], v[32:33] offset1:9
	v_mov_b32_e32 v35, v21
	v_pk_add_f32 v[20:21], v[126:127], v[54:55]
	v_pk_add_f32 v[22:23], v[126:127], v[54:55] neg_lo:[0,1] neg_hi:[0,1]
	v_pk_fma_f32 v[20:21], v[20:21], 0.5, v[28:29] op_sel_hi:[1,0,1] neg_lo:[1,0,0] neg_hi:[1,0,0]
	v_pk_mul_f32 v[22:23], v[22:23], s[2:3] op_sel_hi:[1,0]
	ds_write_b64 v1, v[34:35] offset:144
	v_pk_add_f32 v[32:33], v[20:21], v[22:23] op_sel:[0,1] op_sel_hi:[1,0]
	v_pk_add_f32 v[20:21], v[20:21], v[22:23] op_sel:[0,1] op_sel_hi:[1,0] neg_lo:[0,1] neg_hi:[0,1]
	v_pk_add_f32 v[22:23], v[28:29], v[126:127]
	v_mov_b32_e32 v28, v20
	v_pk_add_f32 v[22:23], v[22:23], v[54:55]
	v_mov_b32_e32 v29, v33
	v_accvgpr_read_b32 v1, a109
	ds_write2_b64 v1, v[22:23], v[28:29] offset1:9
	v_mov_b32_e32 v33, v21
	v_pk_add_f32 v[20:21], v[42:43], v[46:47]
	v_pk_add_f32 v[28:29], v[42:43], v[46:47] neg_lo:[0,1] neg_hi:[0,1]
	v_pk_fma_f32 v[20:21], v[20:21], 0.5, v[30:31] op_sel_hi:[1,0,1] neg_lo:[1,0,0] neg_hi:[1,0,0]
	v_pk_mul_f32 v[28:29], v[28:29], s[2:3] op_sel_hi:[1,0]
	v_pk_add_f32 v[22:23], v[30:31], v[42:43]
	v_pk_add_f32 v[30:31], v[20:21], v[28:29] op_sel:[0,1] op_sel_hi:[1,0]
	v_pk_add_f32 v[20:21], v[20:21], v[28:29] op_sel:[0,1] op_sel_hi:[1,0] neg_lo:[0,1] neg_hi:[0,1]
	v_mov_b32_e32 v29, v31
	v_mov_b32_e32 v28, v20
	;; [unrolled: 1-line block ×3, first 2 shown]
	v_pk_add_f32 v[20:21], v[38:39], v[36:37] neg_lo:[0,1] neg_hi:[0,1]
	ds_write_b64 v1, v[32:33] offset:144
	v_pk_add_f32 v[22:23], v[22:23], v[46:47]
	v_accvgpr_read_b32 v1, a111
	v_pk_fma_f32 v[2:3], v[2:3], 0.5, v[24:25] op_sel_hi:[1,0,1] neg_lo:[1,0,0] neg_hi:[1,0,0]
	v_pk_mul_f32 v[20:21], v[20:21], s[2:3] op_sel_hi:[1,0]
	ds_write2_b64 v1, v[22:23], v[28:29] offset1:9
	v_pk_add_f32 v[22:23], v[2:3], v[20:21] op_sel:[0,1] op_sel_hi:[1,0]
	v_pk_add_f32 v[2:3], v[2:3], v[20:21] op_sel:[0,1] op_sel_hi:[1,0] neg_lo:[0,1] neg_hi:[0,1]
	v_pk_add_f32 v[20:21], v[24:25], v[38:39]
	v_mov_b32_e32 v24, v2
	v_mov_b32_e32 v25, v23
	;; [unrolled: 1-line block ×3, first 2 shown]
	v_pk_add_f32 v[2:3], v[10:11], v[12:13]
	v_pk_add_f32 v[14:15], v[26:27], v[10:11]
	v_pk_add_f32 v[10:11], v[10:11], v[12:13] neg_lo:[0,1] neg_hi:[0,1]
	v_pk_fma_f32 v[2:3], v[2:3], 0.5, v[26:27] op_sel_hi:[1,0,1] neg_lo:[1,0,0] neg_hi:[1,0,0]
	v_pk_mul_f32 v[10:11], v[10:11], s[2:3] op_sel_hi:[1,0]
	ds_write_b64 v1, v[30:31] offset:144
	v_pk_add_f32 v[20:21], v[20:21], v[36:37]
	v_accvgpr_read_b32 v1, a115
	v_pk_add_f32 v[16:17], v[2:3], v[10:11] op_sel:[0,1] op_sel_hi:[1,0]
	v_pk_add_f32 v[2:3], v[2:3], v[10:11] op_sel:[0,1] op_sel_hi:[1,0] neg_lo:[0,1] neg_hi:[0,1]
	ds_write2_b64 v1, v[20:21], v[24:25] offset1:9
	ds_write_b64 v1, v[22:23] offset:144
	v_pk_add_f32 v[10:11], v[14:15], v[12:13]
	v_mov_b32_e32 v12, v2
	v_mov_b32_e32 v13, v17
	v_accvgpr_read_b32 v1, a117
	v_mov_b32_e32 v17, v3
	ds_write2_b64 v1, v[10:11], v[12:13] offset1:9
	ds_write_b64 v1, v[16:17] offset:144
	v_mov_b32_e32 v1, v7
	v_pk_add_f32 v[2:3], v[4:5], v[0:1]
	v_pk_add_f32 v[6:7], v[18:19], v[4:5]
	v_pk_add_f32 v[4:5], v[4:5], v[0:1] neg_lo:[0,1] neg_hi:[0,1]
	v_pk_fma_f32 v[2:3], v[2:3], 0.5, v[18:19] op_sel_hi:[1,0,1] neg_lo:[1,0,0] neg_hi:[1,0,0]
	v_pk_mul_f32 v[4:5], v[4:5], s[2:3] op_sel_hi:[1,0]
	v_pk_add_f32 v[0:1], v[6:7], v[0:1]
	v_pk_add_f32 v[8:9], v[2:3], v[4:5] op_sel:[0,1] op_sel_hi:[1,0]
	v_pk_add_f32 v[2:3], v[2:3], v[4:5] op_sel:[0,1] op_sel_hi:[1,0] neg_lo:[0,1] neg_hi:[0,1]
	v_mov_b32_e32 v5, v9
	v_mov_b32_e32 v4, v2
	;; [unrolled: 1-line block ×3, first 2 shown]
	ds_write2_b64 v219, v[0:1], v[4:5] offset1:9
	ds_write_b64 v219, v[8:9] offset:144
	s_waitcnt lgkmcnt(0)
	s_barrier
	ds_read_b64 v[2:3], v216 offset:50544
	ds_read2_b64 v[12:15], v195 offset1:243
	v_accvgpr_read_b32 v0, a216
	ds_read2_b64 v[18:21], v207 offset0:8 offset1:251
	s_waitcnt lgkmcnt(2)
	v_pk_mul_f32 v[4:5], v[0:1], v[2:3] op_sel_hi:[0,1]
	v_pk_fma_f32 v[0:1], v[74:75], v[2:3], v[4:5] op_sel:[0,0,1] op_sel_hi:[1,1,0]
	v_pk_fma_f32 v[6:7], v[74:75], v[2:3], v[4:5] op_sel:[0,0,1] op_sel_hi:[0,1,0] neg_lo:[0,0,1] neg_hi:[0,0,1]
	s_waitcnt lgkmcnt(1)
	v_pk_mul_f32 v[2:3], v[72:73], v[14:15] op_sel:[1,0]
	v_accvgpr_read_b32 v1, a121
	v_pk_fma_f32 v[4:5], v[72:73], v[14:15], v[2:3] op_sel:[0,0,1] op_sel_hi:[1,1,0]
	v_pk_fma_f32 v[8:9], v[72:73], v[14:15], v[2:3] op_sel:[0,0,1] op_sel_hi:[0,1,0] neg_lo:[0,0,1] neg_hi:[0,0,1]
	v_pk_mul_f32 v[2:3], v[80:81], v[12:13] op_sel:[1,0]
	v_mov_b32_e32 v5, v9
	v_pk_fma_f32 v[10:11], v[80:81], v[12:13], v[2:3] op_sel:[0,0,1] op_sel_hi:[1,1,0]
	v_pk_fma_f32 v[14:15], v[80:81], v[12:13], v[2:3] op_sel:[0,0,1] op_sel_hi:[0,1,0] neg_lo:[0,0,1] neg_hi:[0,0,1]
	v_accvgpr_read_b32 v2, a180
	s_waitcnt lgkmcnt(0)
	v_pk_mul_f32 v[2:3], v[2:3], v[20:21] op_sel_hi:[0,1]
	v_pk_fma_f32 v[12:13], v[82:83], v[20:21], v[2:3] op_sel:[0,0,1] op_sel_hi:[1,1,0]
	v_pk_fma_f32 v[16:17], v[82:83], v[20:21], v[2:3] op_sel:[0,0,1] op_sel_hi:[0,1,0] neg_lo:[0,0,1] neg_hi:[0,0,1]
	v_accvgpr_read_b32 v2, a182
	v_pk_mul_f32 v[2:3], v[2:3], v[18:19] op_sel_hi:[0,1]
	v_pk_fma_f32 v[36:37], v[78:79], v[18:19], v[2:3] op_sel:[0,0,1] op_sel_hi:[1,1,0]
	v_pk_fma_f32 v[2:3], v[78:79], v[18:19], v[2:3] op_sel:[0,0,1] op_sel_hi:[0,1,0] neg_lo:[0,0,1] neg_hi:[0,0,1]
	ds_read2_b64 v[18:21], v111 offset0:10 offset1:253
	v_accvgpr_read_b32 v2, a184
	v_mov_b32_e32 v37, v3
	v_mov_b32_e32 v11, v15
	;; [unrolled: 1-line block ×3, first 2 shown]
	s_waitcnt lgkmcnt(0)
	v_pk_mul_f32 v[22:23], v[76:77], v[20:21] op_sel:[1,0]
	s_nop 0
	v_pk_fma_f32 v[38:39], v[76:77], v[20:21], v[22:23] op_sel:[0,0,1] op_sel_hi:[1,1,0]
	v_pk_fma_f32 v[40:41], v[76:77], v[20:21], v[22:23] op_sel:[0,0,1] op_sel_hi:[0,1,0] neg_lo:[0,0,1] neg_hi:[0,0,1]
	v_pk_mul_f32 v[20:21], v[88:89], v[18:19] op_sel:[1,0]
	v_mov_b32_e32 v39, v41
	v_pk_fma_f32 v[42:43], v[88:89], v[18:19], v[20:21] op_sel:[0,0,1] op_sel_hi:[1,1,0]
	v_pk_fma_f32 v[44:45], v[88:89], v[18:19], v[20:21] op_sel:[0,0,1] op_sel_hi:[0,1,0] neg_lo:[0,0,1] neg_hi:[0,0,1]
	ds_read2_b64 v[18:21], v223 offset0:2 offset1:245
	v_mov_b32_e32 v43, v45
	s_waitcnt lgkmcnt(0)
	v_pk_mul_f32 v[22:23], v[2:3], v[20:21] op_sel_hi:[0,1]
	v_accvgpr_read_b32 v2, a186
	v_pk_fma_f32 v[46:47], v[90:91], v[20:21], v[22:23] op_sel:[0,0,1] op_sel_hi:[1,1,0]
	v_pk_fma_f32 v[48:49], v[90:91], v[20:21], v[22:23] op_sel:[0,0,1] op_sel_hi:[0,1,0] neg_lo:[0,0,1] neg_hi:[0,0,1]
	v_pk_mul_f32 v[20:21], v[2:3], v[18:19] op_sel_hi:[0,1]
	v_pk_fma_f32 v[54:55], v[86:87], v[18:19], v[20:21] op_sel:[0,0,1] op_sel_hi:[1,1,0]
	v_pk_fma_f32 v[72:73], v[86:87], v[18:19], v[20:21] op_sel:[0,0,1] op_sel_hi:[0,1,0] neg_lo:[0,0,1] neg_hi:[0,0,1]
	ds_read2_b64 v[18:21], v167 offset0:4 offset1:247
	v_accvgpr_read_b32 v2, a190
	v_mov_b32_e32 v55, v73
	v_mov_b32_e32 v47, v49
	s_waitcnt lgkmcnt(0)
	v_pk_mul_f32 v[22:23], v[84:85], v[20:21] op_sel:[1,0]
	s_nop 0
	v_pk_fma_f32 v[76:77], v[84:85], v[20:21], v[22:23] op_sel:[0,0,1] op_sel_hi:[1,1,0]
	v_pk_fma_f32 v[80:81], v[84:85], v[20:21], v[22:23] op_sel:[0,0,1] op_sel_hi:[0,1,0] neg_lo:[0,0,1] neg_hi:[0,0,1]
	v_pk_mul_f32 v[20:21], v[96:97], v[18:19] op_sel:[1,0]
	v_mov_b32_e32 v77, v81
	v_pk_fma_f32 v[84:85], v[96:97], v[18:19], v[20:21] op_sel:[0,0,1] op_sel_hi:[1,1,0]
	v_pk_fma_f32 v[88:89], v[96:97], v[18:19], v[20:21] op_sel:[0,0,1] op_sel_hi:[0,1,0] neg_lo:[0,0,1] neg_hi:[0,0,1]
	ds_read2_b64 v[18:21], v227 offset0:12 offset1:255
	v_mov_b32_e32 v85, v89
	s_waitcnt lgkmcnt(0)
	v_pk_mul_f32 v[22:23], v[2:3], v[20:21] op_sel_hi:[0,1]
	v_accvgpr_read_b32 v2, a192
	v_pk_fma_f32 v[96:97], v[98:99], v[20:21], v[22:23] op_sel:[0,0,1] op_sel_hi:[1,1,0]
	v_pk_fma_f32 v[124:125], v[98:99], v[20:21], v[22:23] op_sel:[0,0,1] op_sel_hi:[0,1,0] neg_lo:[0,0,1] neg_hi:[0,0,1]
	v_pk_mul_f32 v[20:21], v[2:3], v[18:19] op_sel_hi:[0,1]
	v_pk_fma_f32 v[126:127], v[94:95], v[18:19], v[20:21] op_sel:[0,0,1] op_sel_hi:[1,1,0]
	v_pk_fma_f32 v[132:133], v[94:95], v[18:19], v[20:21] op_sel:[0,0,1] op_sel_hi:[0,1,0] neg_lo:[0,0,1] neg_hi:[0,0,1]
	ds_read2_b64 v[18:21], v119 offset0:6 offset1:249
	v_accvgpr_read_b32 v2, a194
	v_mov_b32_e32 v127, v133
	v_mov_b32_e32 v97, v125
	s_waitcnt lgkmcnt(0)
	v_pk_mul_f32 v[22:23], v[92:93], v[20:21] op_sel:[1,0]
	s_nop 0
	v_pk_fma_f32 v[134:135], v[92:93], v[20:21], v[22:23] op_sel:[0,0,1] op_sel_hi:[1,1,0]
	v_pk_fma_f32 v[92:93], v[92:93], v[20:21], v[22:23] op_sel:[0,0,1] op_sel_hi:[0,1,0] neg_lo:[0,0,1] neg_hi:[0,0,1]
	v_pk_mul_f32 v[20:21], v[104:105], v[18:19] op_sel:[1,0]
	v_mov_b32_e32 v135, v93
	v_pk_fma_f32 v[196:197], v[104:105], v[18:19], v[20:21] op_sel:[0,0,1] op_sel_hi:[1,1,0]
	v_pk_fma_f32 v[104:105], v[104:105], v[18:19], v[20:21] op_sel:[0,0,1] op_sel_hi:[0,1,0] neg_lo:[0,0,1] neg_hi:[0,0,1]
	ds_read2_b64 v[18:21], v59 offset0:6 offset1:249
	v_mov_b32_e32 v197, v105
	s_waitcnt lgkmcnt(0)
	v_pk_mul_f32 v[22:23], v[2:3], v[20:21] op_sel_hi:[0,1]
	v_accvgpr_read_b32 v2, a196
	v_pk_fma_f32 v[198:199], v[106:107], v[20:21], v[22:23] op_sel:[0,0,1] op_sel_hi:[1,1,0]
	v_pk_fma_f32 v[208:209], v[106:107], v[20:21], v[22:23] op_sel:[0,0,1] op_sel_hi:[0,1,0] neg_lo:[0,0,1] neg_hi:[0,0,1]
	v_pk_mul_f32 v[20:21], v[2:3], v[18:19] op_sel_hi:[0,1]
	v_pk_fma_f32 v[24:25], v[102:103], v[18:19], v[20:21] op_sel:[0,0,1] op_sel_hi:[1,1,0]
	v_pk_fma_f32 v[22:23], v[102:103], v[18:19], v[20:21] op_sel:[0,0,1] op_sel_hi:[0,1,0] neg_lo:[0,0,1] neg_hi:[0,0,1]
	ds_read2_b64 v[18:21], v115 offset0:8 offset1:251
	v_mov_b32_e32 v25, v23
	v_mov_b32_e32 v199, v209
	v_pk_add_f32 v[2:3], v[38:39], v[36:37]
	s_waitcnt lgkmcnt(0)
	v_pk_mul_f32 v[26:27], v[100:101], v[20:21] op_sel:[1,0]
	s_nop 0
	v_pk_fma_f32 v[28:29], v[100:101], v[20:21], v[26:27] op_sel:[0,0,1] op_sel_hi:[1,1,0]
	v_pk_fma_f32 v[20:21], v[100:101], v[20:21], v[26:27] op_sel:[0,0,1] op_sel_hi:[0,1,0] neg_lo:[0,0,1] neg_hi:[0,0,1]
	v_mov_b32_e32 v29, v21
	ds_read2_b64 v[20:23], v216 offset1:243
	s_waitcnt lgkmcnt(0)
	v_pk_add_f32 v[26:27], v[20:21], v[28:29]
	s_nop 0
	v_pk_add_f32 v[100:101], v[26:27], v[24:25]
	v_pk_add_f32 v[26:27], v[28:29], v[24:25]
	v_pk_add_f32 v[24:25], v[28:29], v[24:25] neg_lo:[0,1] neg_hi:[0,1]
	v_pk_fma_f32 v[20:21], v[26:27], 0.5, v[20:21] op_sel_hi:[1,0,1] neg_lo:[1,0,0] neg_hi:[1,0,0]
	v_pk_mul_f32 v[24:25], v[24:25], s[2:3] op_sel_hi:[1,0]
	s_nop 0
	v_pk_add_f32 v[210:211], v[20:21], v[24:25] op_sel:[0,1] op_sel_hi:[1,0] neg_lo:[0,1] neg_hi:[0,1]
	v_pk_add_f32 v[20:21], v[20:21], v[24:25] op_sel:[0,1] op_sel_hi:[1,0]
	v_mov_b32_e32 v218, v210
	v_mov_b32_e32 v219, v21
	;; [unrolled: 1-line block ×3, first 2 shown]
	ds_read2_b64 v[24:27], v203 offset0:2 offset1:245
	ds_read2_b64 v[28:31], v107 offset0:12 offset1:255
	;; [unrolled: 1-line block ×3, first 2 shown]
	s_waitcnt lgkmcnt(0)
	s_barrier
	ds_write2_b64 v79, v[100:101], v[218:219] offset1:27
	ds_write_b64 v79, v[20:21] offset:432
	v_pk_add_f32 v[20:21], v[196:197], v[198:199]
	v_pk_add_f32 v[78:79], v[196:197], v[198:199] neg_lo:[0,1] neg_hi:[0,1]
	v_pk_fma_f32 v[20:21], v[20:21], 0.5, v[22:23] op_sel_hi:[1,0,1] neg_lo:[1,0,0] neg_hi:[1,0,0]
	v_pk_mul_f32 v[78:79], v[78:79], s[2:3] op_sel_hi:[1,0]
	v_pk_add_f32 v[22:23], v[22:23], v[196:197]
	v_pk_add_f32 v[100:101], v[20:21], v[78:79] op_sel:[0,1] op_sel_hi:[1,0]
	v_pk_add_f32 v[20:21], v[20:21], v[78:79] op_sel:[0,1] op_sel_hi:[1,0] neg_lo:[0,1] neg_hi:[0,1]
	v_pk_add_f32 v[22:23], v[22:23], v[198:199]
	v_mov_b32_e32 v78, v20
	v_mov_b32_e32 v79, v101
	ds_write2_b64 v1, v[22:23], v[78:79] offset1:27
	v_mov_b32_e32 v101, v21
	v_pk_add_f32 v[20:21], v[134:135], v[126:127]
	v_pk_add_f32 v[22:23], v[134:135], v[126:127] neg_lo:[0,1] neg_hi:[0,1]
	v_pk_fma_f32 v[20:21], v[20:21], 0.5, v[32:33] op_sel_hi:[1,0,1] neg_lo:[1,0,0] neg_hi:[1,0,0]
	v_pk_mul_f32 v[22:23], v[22:23], s[2:3] op_sel_hi:[1,0]
	ds_write_b64 v1, v[100:101] offset:432
	v_pk_add_f32 v[78:79], v[20:21], v[22:23] op_sel:[0,1] op_sel_hi:[1,0]
	v_pk_add_f32 v[20:21], v[20:21], v[22:23] op_sel:[0,1] op_sel_hi:[1,0] neg_lo:[0,1] neg_hi:[0,1]
	v_pk_add_f32 v[22:23], v[32:33], v[134:135]
	v_mov_b32_e32 v32, v20
	v_pk_add_f32 v[22:23], v[22:23], v[126:127]
	v_mov_b32_e32 v33, v79
	ds_write2_b64 v87, v[22:23], v[32:33] offset1:27
	v_mov_b32_e32 v79, v21
	v_pk_add_f32 v[20:21], v[84:85], v[96:97]
	v_pk_add_f32 v[32:33], v[84:85], v[96:97] neg_lo:[0,1] neg_hi:[0,1]
	v_pk_fma_f32 v[20:21], v[20:21], 0.5, v[34:35] op_sel_hi:[1,0,1] neg_lo:[1,0,0] neg_hi:[1,0,0]
	v_pk_mul_f32 v[32:33], v[32:33], s[2:3] op_sel_hi:[1,0]
	v_pk_add_f32 v[22:23], v[34:35], v[84:85]
	v_pk_add_f32 v[34:35], v[20:21], v[32:33] op_sel:[0,1] op_sel_hi:[1,0]
	v_pk_add_f32 v[20:21], v[20:21], v[32:33] op_sel:[0,1] op_sel_hi:[1,0] neg_lo:[0,1] neg_hi:[0,1]
	v_pk_add_f32 v[22:23], v[22:23], v[96:97]
	v_mov_b32_e32 v32, v20
	v_mov_b32_e32 v33, v35
	ds_write_b64 v87, v[78:79] offset:432
	ds_write2_b64 v91, v[22:23], v[32:33] offset1:27
	v_mov_b32_e32 v35, v21
	v_pk_add_f32 v[20:21], v[76:77], v[54:55]
	v_pk_add_f32 v[22:23], v[76:77], v[54:55] neg_lo:[0,1] neg_hi:[0,1]
	v_pk_fma_f32 v[20:21], v[20:21], 0.5, v[28:29] op_sel_hi:[1,0,1] neg_lo:[1,0,0] neg_hi:[1,0,0]
	v_pk_mul_f32 v[22:23], v[22:23], s[2:3] op_sel_hi:[1,0]
	ds_write_b64 v91, v[34:35] offset:432
	v_pk_add_f32 v[32:33], v[20:21], v[22:23] op_sel:[0,1] op_sel_hi:[1,0]
	v_pk_add_f32 v[20:21], v[20:21], v[22:23] op_sel:[0,1] op_sel_hi:[1,0] neg_lo:[0,1] neg_hi:[0,1]
	v_pk_add_f32 v[22:23], v[28:29], v[76:77]
	v_mov_b32_e32 v28, v20
	v_pk_add_f32 v[22:23], v[22:23], v[54:55]
	v_mov_b32_e32 v29, v33
	ds_write2_b64 v95, v[22:23], v[28:29] offset1:27
	v_mov_b32_e32 v33, v21
	v_pk_add_f32 v[20:21], v[42:43], v[46:47]
	v_pk_add_f32 v[28:29], v[42:43], v[46:47] neg_lo:[0,1] neg_hi:[0,1]
	v_pk_fma_f32 v[20:21], v[20:21], 0.5, v[30:31] op_sel_hi:[1,0,1] neg_lo:[1,0,0] neg_hi:[1,0,0]
	v_pk_mul_f32 v[28:29], v[28:29], s[2:3] op_sel_hi:[1,0]
	v_pk_add_f32 v[22:23], v[30:31], v[42:43]
	v_pk_add_f32 v[30:31], v[20:21], v[28:29] op_sel:[0,1] op_sel_hi:[1,0]
	v_pk_add_f32 v[20:21], v[20:21], v[28:29] op_sel:[0,1] op_sel_hi:[1,0] neg_lo:[0,1] neg_hi:[0,1]
	v_mov_b32_e32 v29, v31
	v_mov_b32_e32 v28, v20
	v_mov_b32_e32 v31, v21
	v_pk_add_f32 v[20:21], v[38:39], v[36:37] neg_lo:[0,1] neg_hi:[0,1]
	v_pk_add_f32 v[22:23], v[22:23], v[46:47]
	v_pk_fma_f32 v[2:3], v[2:3], 0.5, v[24:25] op_sel_hi:[1,0,1] neg_lo:[1,0,0] neg_hi:[1,0,0]
	v_pk_mul_f32 v[20:21], v[20:21], s[2:3] op_sel_hi:[1,0]
	ds_write_b64 v95, v[32:33] offset:432
	ds_write2_b64 v99, v[22:23], v[28:29] offset1:27
	v_pk_add_f32 v[22:23], v[2:3], v[20:21] op_sel:[0,1] op_sel_hi:[1,0]
	v_pk_add_f32 v[2:3], v[2:3], v[20:21] op_sel:[0,1] op_sel_hi:[1,0] neg_lo:[0,1] neg_hi:[0,1]
	v_pk_add_f32 v[20:21], v[24:25], v[38:39]
	v_mov_b32_e32 v24, v2
	v_mov_b32_e32 v25, v23
	v_mov_b32_e32 v23, v3
	v_pk_add_f32 v[2:3], v[10:11], v[12:13]
	v_pk_add_f32 v[14:15], v[26:27], v[10:11]
	v_pk_add_f32 v[10:11], v[10:11], v[12:13] neg_lo:[0,1] neg_hi:[0,1]
	v_pk_fma_f32 v[2:3], v[2:3], 0.5, v[26:27] op_sel_hi:[1,0,1] neg_lo:[1,0,0] neg_hi:[1,0,0]
	v_pk_mul_f32 v[10:11], v[10:11], s[2:3] op_sel_hi:[1,0]
	v_mov_b32_e32 v1, v7
	v_pk_add_f32 v[16:17], v[2:3], v[10:11] op_sel:[0,1] op_sel_hi:[1,0]
	v_pk_add_f32 v[2:3], v[2:3], v[10:11] op_sel:[0,1] op_sel_hi:[1,0] neg_lo:[0,1] neg_hi:[0,1]
	v_pk_add_f32 v[6:7], v[18:19], v[4:5]
	v_pk_add_f32 v[10:11], v[14:15], v[12:13]
	v_mov_b32_e32 v12, v2
	v_mov_b32_e32 v13, v17
	;; [unrolled: 1-line block ×3, first 2 shown]
	v_pk_add_f32 v[2:3], v[4:5], v[0:1]
	v_pk_add_f32 v[6:7], v[6:7], v[0:1]
	v_pk_add_f32 v[0:1], v[4:5], v[0:1] neg_lo:[0,1] neg_hi:[0,1]
	v_pk_fma_f32 v[2:3], v[2:3], 0.5, v[18:19] op_sel_hi:[1,0,1] neg_lo:[1,0,0] neg_hi:[1,0,0]
	v_pk_mul_f32 v[0:1], v[0:1], s[2:3] op_sel_hi:[1,0]
	v_pk_add_f32 v[20:21], v[20:21], v[36:37]
	v_pk_add_f32 v[4:5], v[2:3], v[0:1] op_sel:[0,1] op_sel_hi:[1,0] neg_lo:[0,1] neg_hi:[0,1]
	v_pk_add_f32 v[0:1], v[2:3], v[0:1] op_sel:[0,1] op_sel_hi:[1,0]
	v_mov_b32_e32 v2, v4
	v_mov_b32_e32 v3, v1
	;; [unrolled: 1-line block ×3, first 2 shown]
	ds_write_b64 v99, v[30:31] offset:432
	ds_write2_b64 v103, v[20:21], v[24:25] offset1:27
	ds_write_b64 v103, v[22:23] offset:432
	ds_write2_b64 v83, v[10:11], v[12:13] offset1:27
	;; [unrolled: 2-line block ×3, first 2 shown]
	ds_write_b64 v75, v[0:1] offset:432
	s_waitcnt lgkmcnt(0)
	s_barrier
	ds_read_b64 v[2:3], v216 offset:50544
	ds_read2_b64 v[12:15], v195 offset1:243
	v_accvgpr_read_b32 v0, a226
	ds_read2_b64 v[18:21], v207 offset0:8 offset1:251
	s_waitcnt lgkmcnt(2)
	v_pk_mul_f32 v[4:5], v[0:1], v[2:3] op_sel_hi:[0,1]
	v_pk_fma_f32 v[0:1], v[110:111], v[2:3], v[4:5] op_sel:[0,0,1] op_sel_hi:[1,1,0]
	v_pk_fma_f32 v[6:7], v[110:111], v[2:3], v[4:5] op_sel:[0,0,1] op_sel_hi:[0,1,0] neg_lo:[0,0,1] neg_hi:[0,0,1]
	s_waitcnt lgkmcnt(1)
	v_pk_mul_f32 v[2:3], v[108:109], v[14:15] op_sel:[1,0]
	v_accvgpr_read_b32 v1, a123
	v_pk_fma_f32 v[4:5], v[108:109], v[14:15], v[2:3] op_sel:[0,0,1] op_sel_hi:[1,1,0]
	v_pk_fma_f32 v[8:9], v[108:109], v[14:15], v[2:3] op_sel:[0,0,1] op_sel_hi:[0,1,0] neg_lo:[0,0,1] neg_hi:[0,0,1]
	v_pk_mul_f32 v[2:3], v[116:117], v[12:13] op_sel:[1,0]
	v_mov_b32_e32 v5, v9
	v_pk_fma_f32 v[10:11], v[116:117], v[12:13], v[2:3] op_sel:[0,0,1] op_sel_hi:[1,1,0]
	v_pk_fma_f32 v[14:15], v[116:117], v[12:13], v[2:3] op_sel:[0,0,1] op_sel_hi:[0,1,0] neg_lo:[0,0,1] neg_hi:[0,0,1]
	v_accvgpr_read_b32 v2, a198
	s_waitcnt lgkmcnt(0)
	v_pk_mul_f32 v[2:3], v[2:3], v[20:21] op_sel_hi:[0,1]
	v_pk_fma_f32 v[12:13], v[118:119], v[20:21], v[2:3] op_sel:[0,0,1] op_sel_hi:[1,1,0]
	v_pk_fma_f32 v[16:17], v[118:119], v[20:21], v[2:3] op_sel:[0,0,1] op_sel_hi:[0,1,0] neg_lo:[0,0,1] neg_hi:[0,0,1]
	v_accvgpr_read_b32 v2, a200
	v_pk_mul_f32 v[2:3], v[2:3], v[18:19] op_sel_hi:[0,1]
	v_pk_fma_f32 v[36:37], v[114:115], v[18:19], v[2:3] op_sel:[0,0,1] op_sel_hi:[1,1,0]
	v_pk_fma_f32 v[2:3], v[114:115], v[18:19], v[2:3] op_sel:[0,0,1] op_sel_hi:[0,1,0] neg_lo:[0,0,1] neg_hi:[0,0,1]
	ds_read2_b64 v[18:21], v111 offset0:10 offset1:253
	v_accvgpr_read_b32 v2, a202
	v_mov_b32_e32 v37, v3
	v_mov_b32_e32 v11, v15
	;; [unrolled: 1-line block ×3, first 2 shown]
	s_waitcnt lgkmcnt(0)
	v_pk_mul_f32 v[22:23], v[112:113], v[20:21] op_sel:[1,0]
	s_nop 0
	v_pk_fma_f32 v[38:39], v[112:113], v[20:21], v[22:23] op_sel:[0,0,1] op_sel_hi:[1,1,0]
	v_pk_fma_f32 v[40:41], v[112:113], v[20:21], v[22:23] op_sel:[0,0,1] op_sel_hi:[0,1,0] neg_lo:[0,0,1] neg_hi:[0,0,1]
	v_pk_mul_f32 v[20:21], v[68:69], v[18:19] op_sel:[1,0]
	v_mov_b32_e32 v39, v41
	v_pk_fma_f32 v[42:43], v[68:69], v[18:19], v[20:21] op_sel:[0,0,1] op_sel_hi:[1,1,0]
	v_pk_fma_f32 v[44:45], v[68:69], v[18:19], v[20:21] op_sel:[0,0,1] op_sel_hi:[0,1,0] neg_lo:[0,0,1] neg_hi:[0,0,1]
	ds_read2_b64 v[18:21], v223 offset0:2 offset1:245
	v_mov_b32_e32 v43, v45
	s_waitcnt lgkmcnt(0)
	v_pk_mul_f32 v[22:23], v[2:3], v[20:21] op_sel_hi:[0,1]
	v_accvgpr_read_b32 v2, a204
	v_pk_fma_f32 v[46:47], v[70:71], v[20:21], v[22:23] op_sel:[0,0,1] op_sel_hi:[1,1,0]
	v_pk_fma_f32 v[48:49], v[70:71], v[20:21], v[22:23] op_sel:[0,0,1] op_sel_hi:[0,1,0] neg_lo:[0,0,1] neg_hi:[0,0,1]
	v_pk_mul_f32 v[20:21], v[2:3], v[18:19] op_sel_hi:[0,1]
	v_pk_fma_f32 v[54:55], v[122:123], v[18:19], v[20:21] op_sel:[0,0,1] op_sel_hi:[1,1,0]
	v_pk_fma_f32 v[68:69], v[122:123], v[18:19], v[20:21] op_sel:[0,0,1] op_sel_hi:[0,1,0] neg_lo:[0,0,1] neg_hi:[0,0,1]
	ds_read2_b64 v[18:21], v167 offset0:4 offset1:247
	v_accvgpr_read_b32 v2, a206
	v_mov_b32_e32 v55, v69
	v_mov_b32_e32 v47, v49
	s_waitcnt lgkmcnt(0)
	v_pk_mul_f32 v[22:23], v[120:121], v[20:21] op_sel:[1,0]
	s_nop 0
	v_pk_fma_f32 v[72:73], v[120:121], v[20:21], v[22:23] op_sel:[0,0,1] op_sel_hi:[1,1,0]
	v_pk_fma_f32 v[74:75], v[120:121], v[20:21], v[22:23] op_sel:[0,0,1] op_sel_hi:[0,1,0] neg_lo:[0,0,1] neg_hi:[0,0,1]
	v_pk_mul_f32 v[20:21], v[64:65], v[18:19] op_sel:[1,0]
	v_mov_b32_e32 v73, v75
	v_pk_fma_f32 v[76:77], v[64:65], v[18:19], v[20:21] op_sel:[0,0,1] op_sel_hi:[1,1,0]
	v_pk_fma_f32 v[64:65], v[64:65], v[18:19], v[20:21] op_sel:[0,0,1] op_sel_hi:[0,1,0] neg_lo:[0,0,1] neg_hi:[0,0,1]
	ds_read2_b64 v[18:21], v227 offset0:12 offset1:255
	v_mov_b32_e32 v77, v65
	s_waitcnt lgkmcnt(0)
	v_pk_mul_f32 v[22:23], v[2:3], v[20:21] op_sel_hi:[0,1]
	v_accvgpr_read_b32 v2, a208
	v_pk_fma_f32 v[78:79], v[66:67], v[20:21], v[22:23] op_sel:[0,0,1] op_sel_hi:[1,1,0]
	v_pk_fma_f32 v[80:81], v[66:67], v[20:21], v[22:23] op_sel:[0,0,1] op_sel_hi:[0,1,0] neg_lo:[0,0,1] neg_hi:[0,0,1]
	v_pk_mul_f32 v[20:21], v[2:3], v[18:19] op_sel_hi:[0,1]
	v_pk_fma_f32 v[82:83], v[130:131], v[18:19], v[20:21] op_sel:[0,0,1] op_sel_hi:[1,1,0]
	v_pk_fma_f32 v[84:85], v[130:131], v[18:19], v[20:21] op_sel:[0,0,1] op_sel_hi:[0,1,0] neg_lo:[0,0,1] neg_hi:[0,0,1]
	ds_read2_b64 v[18:21], v119 offset0:6 offset1:249
	v_accvgpr_read_b32 v2, a212
	v_mov_b32_e32 v83, v85
	v_mov_b32_e32 v79, v81
	s_waitcnt lgkmcnt(0)
	v_pk_mul_f32 v[22:23], v[128:129], v[20:21] op_sel:[1,0]
	s_nop 0
	v_pk_fma_f32 v[86:87], v[128:129], v[20:21], v[22:23] op_sel:[0,0,1] op_sel_hi:[1,1,0]
	v_pk_fma_f32 v[88:89], v[128:129], v[20:21], v[22:23] op_sel:[0,0,1] op_sel_hi:[0,1,0] neg_lo:[0,0,1] neg_hi:[0,0,1]
	v_pk_mul_f32 v[20:21], v[144:145], v[18:19] op_sel:[1,0]
	v_mov_b32_e32 v87, v89
	v_pk_fma_f32 v[90:91], v[144:145], v[18:19], v[20:21] op_sel:[0,0,1] op_sel_hi:[1,1,0]
	v_pk_fma_f32 v[92:93], v[144:145], v[18:19], v[20:21] op_sel:[0,0,1] op_sel_hi:[0,1,0] neg_lo:[0,0,1] neg_hi:[0,0,1]
	ds_read2_b64 v[18:21], v59 offset0:6 offset1:249
	v_mov_b32_e32 v91, v93
	s_waitcnt lgkmcnt(0)
	v_pk_mul_f32 v[22:23], v[2:3], v[20:21] op_sel_hi:[0,1]
	v_accvgpr_read_b32 v2, a214
	v_pk_fma_f32 v[94:95], v[146:147], v[20:21], v[22:23] op_sel:[0,0,1] op_sel_hi:[1,1,0]
	v_pk_fma_f32 v[96:97], v[146:147], v[20:21], v[22:23] op_sel:[0,0,1] op_sel_hi:[0,1,0] neg_lo:[0,0,1] neg_hi:[0,0,1]
	v_pk_mul_f32 v[20:21], v[2:3], v[18:19] op_sel_hi:[0,1]
	v_pk_fma_f32 v[24:25], v[142:143], v[18:19], v[20:21] op_sel:[0,0,1] op_sel_hi:[1,1,0]
	v_pk_fma_f32 v[22:23], v[142:143], v[18:19], v[20:21] op_sel:[0,0,1] op_sel_hi:[0,1,0] neg_lo:[0,0,1] neg_hi:[0,0,1]
	ds_read2_b64 v[18:21], v115 offset0:8 offset1:251
	v_mov_b32_e32 v25, v23
	v_mov_b32_e32 v95, v97
	v_pk_add_f32 v[2:3], v[38:39], v[36:37]
	s_waitcnt lgkmcnt(0)
	v_pk_mul_f32 v[26:27], v[140:141], v[20:21] op_sel:[1,0]
	s_nop 0
	v_pk_fma_f32 v[28:29], v[140:141], v[20:21], v[26:27] op_sel:[0,0,1] op_sel_hi:[1,1,0]
	v_pk_fma_f32 v[20:21], v[140:141], v[20:21], v[26:27] op_sel:[0,0,1] op_sel_hi:[0,1,0] neg_lo:[0,0,1] neg_hi:[0,0,1]
	v_mov_b32_e32 v29, v21
	ds_read2_b64 v[20:23], v216 offset1:243
	s_waitcnt lgkmcnt(0)
	v_pk_add_f32 v[26:27], v[20:21], v[28:29]
	s_nop 0
	v_pk_add_f32 v[98:99], v[26:27], v[24:25]
	v_pk_add_f32 v[26:27], v[28:29], v[24:25]
	v_pk_add_f32 v[24:25], v[28:29], v[24:25] neg_lo:[0,1] neg_hi:[0,1]
	v_pk_fma_f32 v[20:21], v[26:27], 0.5, v[20:21] op_sel_hi:[1,0,1] neg_lo:[1,0,0] neg_hi:[1,0,0]
	v_pk_mul_f32 v[24:25], v[24:25], s[2:3] op_sel_hi:[1,0]
	s_nop 0
	v_pk_add_f32 v[100:101], v[20:21], v[24:25] op_sel:[0,1] op_sel_hi:[1,0] neg_lo:[0,1] neg_hi:[0,1]
	v_pk_add_f32 v[20:21], v[20:21], v[24:25] op_sel:[0,1] op_sel_hi:[1,0]
	ds_read2_b64 v[24:27], v203 offset0:2 offset1:245
	ds_read2_b64 v[28:31], v107 offset0:12 offset1:255
	;; [unrolled: 1-line block ×3, first 2 shown]
	v_mov_b32_e32 v103, v21
	v_mov_b32_e32 v21, v101
	s_waitcnt lgkmcnt(0)
	s_barrier
	ds_write_b64 v1, v[20:21] offset:1296
	v_pk_add_f32 v[20:21], v[90:91], v[94:95]
	v_mov_b32_e32 v102, v100
	v_pk_fma_f32 v[20:21], v[20:21], 0.5, v[22:23] op_sel_hi:[1,0,1] neg_lo:[1,0,0] neg_hi:[1,0,0]
	v_pk_add_f32 v[22:23], v[22:23], v[90:91]
	v_pk_add_f32 v[90:91], v[90:91], v[94:95] neg_lo:[0,1] neg_hi:[0,1]
	ds_write2_b64 v1, v[98:99], v[102:103] offset1:81
	v_pk_mul_f32 v[90:91], v[90:91], s[2:3] op_sel_hi:[1,0]
	v_pk_add_f32 v[22:23], v[22:23], v[94:95]
	v_pk_add_f32 v[92:93], v[20:21], v[90:91] op_sel:[0,1] op_sel_hi:[1,0]
	v_pk_add_f32 v[20:21], v[20:21], v[90:91] op_sel:[0,1] op_sel_hi:[1,0] neg_lo:[0,1] neg_hi:[0,1]
	v_mov_b32_e32 v91, v93
	v_mov_b32_e32 v90, v20
	v_accvgpr_read_b32 v1, a127
	ds_write2_b64 v1, v[22:23], v[90:91] offset1:81
	v_mov_b32_e32 v93, v21
	v_pk_add_f32 v[20:21], v[86:87], v[82:83]
	v_pk_add_f32 v[22:23], v[86:87], v[82:83] neg_lo:[0,1] neg_hi:[0,1]
	v_pk_fma_f32 v[20:21], v[20:21], 0.5, v[32:33] op_sel_hi:[1,0,1] neg_lo:[1,0,0] neg_hi:[1,0,0]
	v_pk_mul_f32 v[22:23], v[22:23], s[2:3] op_sel_hi:[1,0]
	ds_write_b64 v1, v[92:93] offset:1296
	v_pk_add_f32 v[84:85], v[20:21], v[22:23] op_sel:[0,1] op_sel_hi:[1,0]
	v_pk_add_f32 v[20:21], v[20:21], v[22:23] op_sel:[0,1] op_sel_hi:[1,0] neg_lo:[0,1] neg_hi:[0,1]
	v_pk_add_f32 v[22:23], v[32:33], v[86:87]
	v_mov_b32_e32 v32, v20
	v_pk_add_f32 v[22:23], v[22:23], v[82:83]
	v_mov_b32_e32 v33, v85
	v_accvgpr_read_b32 v1, a133
	ds_write2_b64 v1, v[22:23], v[32:33] offset1:81
	v_mov_b32_e32 v85, v21
	v_pk_add_f32 v[20:21], v[76:77], v[78:79]
	v_pk_add_f32 v[32:33], v[76:77], v[78:79] neg_lo:[0,1] neg_hi:[0,1]
	v_pk_fma_f32 v[20:21], v[20:21], 0.5, v[34:35] op_sel_hi:[1,0,1] neg_lo:[1,0,0] neg_hi:[1,0,0]
	v_pk_mul_f32 v[32:33], v[32:33], s[2:3] op_sel_hi:[1,0]
	v_pk_add_f32 v[22:23], v[34:35], v[76:77]
	v_pk_add_f32 v[34:35], v[20:21], v[32:33] op_sel:[0,1] op_sel_hi:[1,0]
	v_pk_add_f32 v[20:21], v[20:21], v[32:33] op_sel:[0,1] op_sel_hi:[1,0] neg_lo:[0,1] neg_hi:[0,1]
	v_pk_add_f32 v[22:23], v[22:23], v[78:79]
	v_mov_b32_e32 v32, v20
	v_mov_b32_e32 v33, v35
	ds_write_b64 v1, v[84:85] offset:1296
	ds_write2_b64 v123, v[22:23], v[32:33] offset1:81
	v_mov_b32_e32 v35, v21
	v_pk_add_f32 v[20:21], v[72:73], v[54:55]
	v_pk_add_f32 v[22:23], v[72:73], v[54:55] neg_lo:[0,1] neg_hi:[0,1]
	v_pk_fma_f32 v[20:21], v[20:21], 0.5, v[28:29] op_sel_hi:[1,0,1] neg_lo:[1,0,0] neg_hi:[1,0,0]
	v_pk_mul_f32 v[22:23], v[22:23], s[2:3] op_sel_hi:[1,0]
	ds_write_b64 v123, v[34:35] offset:1296
	v_pk_add_f32 v[32:33], v[20:21], v[22:23] op_sel:[0,1] op_sel_hi:[1,0]
	v_pk_add_f32 v[20:21], v[20:21], v[22:23] op_sel:[0,1] op_sel_hi:[1,0] neg_lo:[0,1] neg_hi:[0,1]
	v_pk_add_f32 v[22:23], v[28:29], v[72:73]
	v_mov_b32_e32 v28, v20
	v_pk_add_f32 v[22:23], v[22:23], v[54:55]
	v_mov_b32_e32 v29, v33
	ds_write2_b64 v131, v[22:23], v[28:29] offset1:81
	v_mov_b32_e32 v33, v21
	v_pk_add_f32 v[20:21], v[42:43], v[46:47]
	v_pk_add_f32 v[28:29], v[42:43], v[46:47] neg_lo:[0,1] neg_hi:[0,1]
	v_pk_fma_f32 v[20:21], v[20:21], 0.5, v[30:31] op_sel_hi:[1,0,1] neg_lo:[1,0,0] neg_hi:[1,0,0]
	v_pk_mul_f32 v[28:29], v[28:29], s[2:3] op_sel_hi:[1,0]
	v_pk_add_f32 v[22:23], v[30:31], v[42:43]
	v_pk_add_f32 v[30:31], v[20:21], v[28:29] op_sel:[0,1] op_sel_hi:[1,0]
	v_pk_add_f32 v[20:21], v[20:21], v[28:29] op_sel:[0,1] op_sel_hi:[1,0] neg_lo:[0,1] neg_hi:[0,1]
	v_mov_b32_e32 v29, v31
	v_mov_b32_e32 v28, v20
	;; [unrolled: 1-line block ×3, first 2 shown]
	v_pk_add_f32 v[20:21], v[38:39], v[36:37] neg_lo:[0,1] neg_hi:[0,1]
	v_pk_add_f32 v[22:23], v[22:23], v[46:47]
	v_pk_fma_f32 v[2:3], v[2:3], 0.5, v[24:25] op_sel_hi:[1,0,1] neg_lo:[1,0,0] neg_hi:[1,0,0]
	v_pk_mul_f32 v[20:21], v[20:21], s[2:3] op_sel_hi:[1,0]
	ds_write_b64 v131, v[32:33] offset:1296
	ds_write2_b64 v71, v[22:23], v[28:29] offset1:81
	v_pk_add_f32 v[22:23], v[2:3], v[20:21] op_sel:[0,1] op_sel_hi:[1,0]
	v_pk_add_f32 v[2:3], v[2:3], v[20:21] op_sel:[0,1] op_sel_hi:[1,0] neg_lo:[0,1] neg_hi:[0,1]
	v_pk_add_f32 v[20:21], v[24:25], v[38:39]
	v_mov_b32_e32 v24, v2
	v_mov_b32_e32 v25, v23
	;; [unrolled: 1-line block ×3, first 2 shown]
	v_pk_add_f32 v[2:3], v[10:11], v[12:13]
	v_pk_add_f32 v[14:15], v[26:27], v[10:11]
	v_pk_add_f32 v[10:11], v[10:11], v[12:13] neg_lo:[0,1] neg_hi:[0,1]
	v_pk_fma_f32 v[2:3], v[2:3], 0.5, v[26:27] op_sel_hi:[1,0,1] neg_lo:[1,0,0] neg_hi:[1,0,0]
	v_pk_mul_f32 v[10:11], v[10:11], s[2:3] op_sel_hi:[1,0]
	v_mov_b32_e32 v1, v7
	v_pk_add_f32 v[16:17], v[2:3], v[10:11] op_sel:[0,1] op_sel_hi:[1,0]
	v_pk_add_f32 v[2:3], v[2:3], v[10:11] op_sel:[0,1] op_sel_hi:[1,0] neg_lo:[0,1] neg_hi:[0,1]
	v_pk_add_f32 v[10:11], v[14:15], v[12:13]
	v_mov_b32_e32 v12, v2
	v_mov_b32_e32 v13, v17
	;; [unrolled: 1-line block ×3, first 2 shown]
	v_pk_add_f32 v[2:3], v[4:5], v[0:1]
	v_pk_add_f32 v[6:7], v[18:19], v[4:5]
	v_pk_add_f32 v[4:5], v[4:5], v[0:1] neg_lo:[0,1] neg_hi:[0,1]
	v_pk_fma_f32 v[2:3], v[2:3], 0.5, v[18:19] op_sel_hi:[1,0,1] neg_lo:[1,0,0] neg_hi:[1,0,0]
	v_pk_mul_f32 v[4:5], v[4:5], s[2:3] op_sel_hi:[1,0]
	v_pk_add_f32 v[20:21], v[20:21], v[36:37]
	v_pk_add_f32 v[8:9], v[2:3], v[4:5] op_sel:[0,1] op_sel_hi:[1,0]
	v_pk_add_f32 v[2:3], v[2:3], v[4:5] op_sel:[0,1] op_sel_hi:[1,0] neg_lo:[0,1] neg_hi:[0,1]
	v_pk_add_f32 v[0:1], v[6:7], v[0:1]
	v_mov_b32_e32 v4, v2
	v_mov_b32_e32 v5, v9
	;; [unrolled: 1-line block ×3, first 2 shown]
	ds_write_b64 v71, v[30:31] offset:1296
	ds_write2_b64 v143, v[20:21], v[24:25] offset1:81
	ds_write_b64 v143, v[22:23] offset:1296
	ds_write2_b64 v147, v[10:11], v[12:13] offset1:81
	;; [unrolled: 2-line block ×3, first 2 shown]
	ds_write_b64 v67, v[8:9] offset:1296
	s_waitcnt lgkmcnt(0)
	s_barrier
	ds_read_b64 v[2:3], v216 offset:50544
	ds_read2_b64 v[10:13], v195 offset1:243
	v_accvgpr_read_b32 v0, a254
	ds_read2_b64 v[14:17], v207 offset0:8 offset1:251
	s_waitcnt lgkmcnt(2)
	v_pk_mul_f32 v[4:5], v[0:1], v[2:3] op_sel_hi:[0,1]
	v_pk_fma_f32 v[0:1], v[162:163], v[2:3], v[4:5] op_sel:[0,0,1] op_sel_hi:[1,1,0]
	v_pk_fma_f32 v[6:7], v[162:163], v[2:3], v[4:5] op_sel:[0,0,1] op_sel_hi:[0,1,0] neg_lo:[0,0,1] neg_hi:[0,0,1]
	s_waitcnt lgkmcnt(1)
	v_pk_mul_f32 v[2:3], v[160:161], v[12:13] op_sel:[1,0]
	v_accvgpr_read_b32 v1, a137
	v_pk_fma_f32 v[4:5], v[160:161], v[12:13], v[2:3] op_sel:[0,0,1] op_sel_hi:[1,1,0]
	v_pk_fma_f32 v[8:9], v[160:161], v[12:13], v[2:3] op_sel:[0,0,1] op_sel_hi:[0,1,0] neg_lo:[0,0,1] neg_hi:[0,0,1]
	v_pk_mul_f32 v[2:3], v[152:153], v[10:11] op_sel:[1,0]
	v_mov_b32_e32 v5, v9
	v_pk_fma_f32 v[28:29], v[152:153], v[10:11], v[2:3] op_sel:[0,0,1] op_sel_hi:[1,1,0]
	v_pk_fma_f32 v[2:3], v[152:153], v[10:11], v[2:3] op_sel:[0,0,1] op_sel_hi:[0,1,0] neg_lo:[0,0,1] neg_hi:[0,0,1]
	ds_read2_b64 v[10:13], v111 offset0:10 offset1:253
	v_accvgpr_read_b32 v2, a220
	s_waitcnt lgkmcnt(1)
	v_pk_mul_f32 v[18:19], v[2:3], v[16:17] op_sel_hi:[0,1]
	v_accvgpr_read_b32 v2, a218
	v_pk_fma_f32 v[30:31], v[154:155], v[16:17], v[18:19] op_sel:[0,0,1] op_sel_hi:[1,1,0]
	v_pk_fma_f32 v[32:33], v[154:155], v[16:17], v[18:19] op_sel:[0,0,1] op_sel_hi:[0,1,0] neg_lo:[0,0,1] neg_hi:[0,0,1]
	v_pk_mul_f32 v[16:17], v[2:3], v[14:15] op_sel_hi:[0,1]
	v_pk_fma_f32 v[34:35], v[158:159], v[14:15], v[16:17] op_sel:[0,0,1] op_sel_hi:[1,1,0]
	v_pk_fma_f32 v[36:37], v[158:159], v[14:15], v[16:17] op_sel:[0,0,1] op_sel_hi:[0,1,0] neg_lo:[0,0,1] neg_hi:[0,0,1]
	s_waitcnt lgkmcnt(0)
	v_pk_mul_f32 v[14:15], v[156:157], v[12:13] op_sel:[1,0]
	v_accvgpr_read_b32 v2, a222
	v_pk_fma_f32 v[38:39], v[156:157], v[12:13], v[14:15] op_sel:[0,0,1] op_sel_hi:[1,1,0]
	v_pk_fma_f32 v[40:41], v[156:157], v[12:13], v[14:15] op_sel:[0,0,1] op_sel_hi:[0,1,0] neg_lo:[0,0,1] neg_hi:[0,0,1]
	v_pk_mul_f32 v[12:13], v[176:177], v[10:11] op_sel:[1,0]
	v_mov_b32_e32 v39, v41
	v_pk_fma_f32 v[42:43], v[176:177], v[10:11], v[12:13] op_sel:[0,0,1] op_sel_hi:[1,1,0]
	v_pk_fma_f32 v[44:45], v[176:177], v[10:11], v[12:13] op_sel:[0,0,1] op_sel_hi:[0,1,0] neg_lo:[0,0,1] neg_hi:[0,0,1]
	ds_read2_b64 v[10:13], v223 offset0:2 offset1:245
	v_mov_b32_e32 v43, v45
	v_mov_b32_e32 v35, v37
	;; [unrolled: 1-line block ×4, first 2 shown]
	s_waitcnt lgkmcnt(0)
	v_pk_mul_f32 v[14:15], v[2:3], v[12:13] op_sel_hi:[0,1]
	v_accvgpr_read_b32 v2, a224
	v_pk_fma_f32 v[46:47], v[178:179], v[12:13], v[14:15] op_sel:[0,0,1] op_sel_hi:[1,1,0]
	v_pk_fma_f32 v[48:49], v[178:179], v[12:13], v[14:15] op_sel:[0,0,1] op_sel_hi:[0,1,0] neg_lo:[0,0,1] neg_hi:[0,0,1]
	v_pk_mul_f32 v[12:13], v[2:3], v[10:11] op_sel_hi:[0,1]
	v_pk_fma_f32 v[54:55], v[174:175], v[10:11], v[12:13] op_sel:[0,0,1] op_sel_hi:[1,1,0]
	v_pk_fma_f32 v[64:65], v[174:175], v[10:11], v[12:13] op_sel:[0,0,1] op_sel_hi:[0,1,0] neg_lo:[0,0,1] neg_hi:[0,0,1]
	ds_read2_b64 v[10:13], v167 offset0:4 offset1:247
	v_accvgpr_read_b32 v2, a230
	v_mov_b32_e32 v55, v65
	v_mov_b32_e32 v47, v49
	s_waitcnt lgkmcnt(0)
	v_pk_mul_f32 v[14:15], v[172:173], v[12:13] op_sel:[1,0]
	s_nop 0
	v_pk_fma_f32 v[66:67], v[172:173], v[12:13], v[14:15] op_sel:[0,0,1] op_sel_hi:[1,1,0]
	v_pk_fma_f32 v[68:69], v[172:173], v[12:13], v[14:15] op_sel:[0,0,1] op_sel_hi:[0,1,0] neg_lo:[0,0,1] neg_hi:[0,0,1]
	v_pk_mul_f32 v[12:13], v[188:189], v[10:11] op_sel:[1,0]
	v_mov_b32_e32 v67, v69
	v_pk_fma_f32 v[70:71], v[188:189], v[10:11], v[12:13] op_sel:[0,0,1] op_sel_hi:[1,1,0]
	v_pk_fma_f32 v[72:73], v[188:189], v[10:11], v[12:13] op_sel:[0,0,1] op_sel_hi:[0,1,0] neg_lo:[0,0,1] neg_hi:[0,0,1]
	ds_read2_b64 v[10:13], v227 offset0:12 offset1:255
	v_mov_b32_e32 v71, v73
	s_waitcnt lgkmcnt(0)
	v_pk_mul_f32 v[14:15], v[2:3], v[12:13] op_sel_hi:[0,1]
	v_accvgpr_read_b32 v2, a228
	v_pk_fma_f32 v[74:75], v[190:191], v[12:13], v[14:15] op_sel:[0,0,1] op_sel_hi:[1,1,0]
	v_pk_fma_f32 v[76:77], v[190:191], v[12:13], v[14:15] op_sel:[0,0,1] op_sel_hi:[0,1,0] neg_lo:[0,0,1] neg_hi:[0,0,1]
	v_pk_mul_f32 v[12:13], v[2:3], v[10:11] op_sel_hi:[0,1]
	v_pk_fma_f32 v[78:79], v[186:187], v[10:11], v[12:13] op_sel:[0,0,1] op_sel_hi:[1,1,0]
	v_pk_fma_f32 v[80:81], v[186:187], v[10:11], v[12:13] op_sel:[0,0,1] op_sel_hi:[0,1,0] neg_lo:[0,0,1] neg_hi:[0,0,1]
	ds_read2_b64 v[10:13], v119 offset0:6 offset1:249
	v_accvgpr_read_b32 v2, a210
	v_mov_b32_e32 v79, v81
	v_mov_b32_e32 v75, v77
	s_waitcnt lgkmcnt(0)
	v_pk_mul_f32 v[14:15], v[184:185], v[12:13] op_sel:[1,0]
	s_nop 0
	v_pk_fma_f32 v[82:83], v[184:185], v[12:13], v[14:15] op_sel:[0,0,1] op_sel_hi:[1,1,0]
	v_pk_fma_f32 v[84:85], v[184:185], v[12:13], v[14:15] op_sel:[0,0,1] op_sel_hi:[0,1,0] neg_lo:[0,0,1] neg_hi:[0,0,1]
	v_pk_mul_f32 v[12:13], v[136:137], v[10:11] op_sel:[1,0]
	v_mov_b32_e32 v83, v85
	v_pk_fma_f32 v[86:87], v[136:137], v[10:11], v[12:13] op_sel:[0,0,1] op_sel_hi:[1,1,0]
	v_pk_fma_f32 v[88:89], v[136:137], v[10:11], v[12:13] op_sel:[0,0,1] op_sel_hi:[0,1,0] neg_lo:[0,0,1] neg_hi:[0,0,1]
	ds_read2_b64 v[10:13], v59 offset0:6 offset1:249
	v_mov_b32_e32 v87, v89
	s_waitcnt lgkmcnt(0)
	v_pk_mul_f32 v[14:15], v[2:3], v[10:11] op_sel_hi:[0,1]
	v_pk_fma_f32 v[16:17], v[138:139], v[10:11], v[14:15] op_sel:[0,0,1] op_sel_hi:[1,1,0]
	v_pk_fma_f32 v[14:15], v[138:139], v[10:11], v[14:15] op_sel:[0,0,1] op_sel_hi:[0,1,0] neg_lo:[0,0,1] neg_hi:[0,0,1]
	v_pk_mul_f32 v[10:11], v[2:3], v[12:13] op_sel_hi:[0,1]
	v_pk_fma_f32 v[90:91], v[138:139], v[12:13], v[10:11] op_sel:[0,0,1] op_sel_hi:[1,1,0]
	v_pk_fma_f32 v[92:93], v[138:139], v[12:13], v[10:11] op_sel:[0,0,1] op_sel_hi:[0,1,0] neg_lo:[0,0,1] neg_hi:[0,0,1]
	ds_read2_b64 v[10:13], v115 offset0:8 offset1:251
	v_mov_b32_e32 v17, v15
	v_mov_b32_e32 v91, v93
	v_pk_add_f32 v[88:89], v[86:87], v[90:91]
	v_pk_add_f32 v[2:3], v[28:29], v[30:31]
	s_waitcnt lgkmcnt(0)
	v_pk_mul_f32 v[18:19], v[136:137], v[12:13] op_sel:[1,0]
	v_pk_add_f32 v[8:9], v[10:11], v[4:5]
	v_pk_fma_f32 v[20:21], v[136:137], v[12:13], v[18:19] op_sel:[0,0,1] op_sel_hi:[1,1,0]
	v_pk_fma_f32 v[12:13], v[136:137], v[12:13], v[18:19] op_sel:[0,0,1] op_sel_hi:[0,1,0] neg_lo:[0,0,1] neg_hi:[0,0,1]
	v_mov_b32_e32 v21, v13
	ds_read2_b64 v[12:15], v216 offset1:243
	s_waitcnt lgkmcnt(0)
	v_pk_add_f32 v[18:19], v[12:13], v[20:21]
	s_nop 0
	v_pk_add_f32 v[94:95], v[18:19], v[16:17]
	v_pk_add_f32 v[18:19], v[20:21], v[16:17]
	v_pk_add_f32 v[16:17], v[20:21], v[16:17] neg_lo:[0,1] neg_hi:[0,1]
	v_pk_fma_f32 v[12:13], v[18:19], 0.5, v[12:13] op_sel_hi:[1,0,1] neg_lo:[1,0,0] neg_hi:[1,0,0]
	v_pk_mul_f32 v[16:17], v[16:17], s[2:3] op_sel_hi:[1,0]
	v_pk_fma_f32 v[88:89], v[88:89], 0.5, v[14:15] op_sel_hi:[1,0,1] neg_lo:[1,0,0] neg_hi:[1,0,0]
	v_pk_add_f32 v[96:97], v[12:13], v[16:17] op_sel:[0,1] op_sel_hi:[1,0] neg_lo:[0,1] neg_hi:[0,1]
	v_pk_add_f32 v[12:13], v[12:13], v[16:17] op_sel:[0,1] op_sel_hi:[1,0]
	v_pk_add_f32 v[14:15], v[14:15], v[86:87]
	v_mov_b32_e32 v98, v96
	v_mov_b32_e32 v99, v13
	;; [unrolled: 1-line block ×3, first 2 shown]
	v_pk_add_f32 v[14:15], v[14:15], v[90:91]
	ds_read2_b64 v[16:19], v203 offset0:2 offset1:245
	ds_read2_b64 v[20:23], v107 offset0:12 offset1:255
	;; [unrolled: 1-line block ×3, first 2 shown]
	s_waitcnt lgkmcnt(0)
	s_barrier
	ds_write2_b64 v216, v[94:95], v[98:99] offset1:243
	ds_write2_b64 v215, v[12:13], v[14:15] offset0:6 offset1:249
	v_pk_add_f32 v[12:13], v[86:87], v[90:91] neg_lo:[0,1] neg_hi:[0,1]
	v_pk_fma_f32 v[2:3], v[2:3], 0.5, v[18:19] op_sel_hi:[1,0,1] neg_lo:[1,0,0] neg_hi:[1,0,0]
	v_pk_mul_f32 v[12:13], v[12:13], s[2:3] op_sel_hi:[1,0]
	s_nop 0
	v_pk_add_f32 v[14:15], v[88:89], v[12:13] op_sel:[0,1] op_sel_hi:[1,0]
	v_pk_add_f32 v[12:13], v[88:89], v[12:13] op_sel:[0,1] op_sel_hi:[1,0] neg_lo:[0,1] neg_hi:[0,1]
	v_mov_b32_e32 v87, v15
	v_mov_b32_e32 v86, v12
	;; [unrolled: 1-line block ×3, first 2 shown]
	ds_write2_b64 v107, v[86:87], v[14:15] offset0:12 offset1:255
	v_pk_add_f32 v[12:13], v[82:83], v[78:79]
	v_pk_add_f32 v[14:15], v[82:83], v[78:79] neg_lo:[0,1] neg_hi:[0,1]
	v_pk_fma_f32 v[12:13], v[12:13], 0.5, v[24:25] op_sel_hi:[1,0,1] neg_lo:[1,0,0] neg_hi:[1,0,0]
	v_pk_mul_f32 v[14:15], v[14:15], s[2:3] op_sel_hi:[1,0]
	s_nop 0
	v_pk_add_f32 v[80:81], v[12:13], v[14:15] op_sel:[0,1] op_sel_hi:[1,0]
	v_pk_add_f32 v[12:13], v[12:13], v[14:15] op_sel:[0,1] op_sel_hi:[1,0] neg_lo:[0,1] neg_hi:[0,1]
	v_pk_add_f32 v[14:15], v[24:25], v[82:83]
	v_mov_b32_e32 v24, v12
	v_pk_add_f32 v[14:15], v[14:15], v[78:79]
	v_mov_b32_e32 v25, v81
	ds_write2_b64 v1, v[14:15], v[24:25] offset0:2 offset1:245
	v_pk_add_f32 v[14:15], v[70:71], v[74:75]
	v_pk_add_f32 v[24:25], v[26:27], v[70:71]
	v_pk_fma_f32 v[14:15], v[14:15], 0.5, v[26:27] op_sel_hi:[1,0,1] neg_lo:[1,0,0] neg_hi:[1,0,0]
	v_pk_add_f32 v[26:27], v[70:71], v[74:75] neg_lo:[0,1] neg_hi:[0,1]
	v_pk_add_f32 v[24:25], v[24:25], v[74:75]
	v_pk_mul_f32 v[26:27], v[26:27], s[2:3] op_sel_hi:[1,0]
	v_accvgpr_read_b32 v1, a139
	v_pk_add_f32 v[70:71], v[14:15], v[26:27] op_sel:[0,1] op_sel_hi:[1,0]
	v_pk_add_f32 v[14:15], v[14:15], v[26:27] op_sel:[0,1] op_sel_hi:[1,0] neg_lo:[0,1] neg_hi:[0,1]
	v_mov_b32_e32 v27, v71
	v_mov_b32_e32 v26, v14
	ds_write2_b64 v1, v[24:25], v[26:27] offset0:11 offset1:254
	v_pk_add_f32 v[24:25], v[66:67], v[54:55]
	v_pk_add_f32 v[26:27], v[66:67], v[54:55] neg_lo:[0,1] neg_hi:[0,1]
	v_pk_fma_f32 v[24:25], v[24:25], 0.5, v[20:21] op_sel_hi:[1,0,1] neg_lo:[1,0,0] neg_hi:[1,0,0]
	v_pk_mul_f32 v[26:27], v[26:27], s[2:3] op_sel_hi:[1,0]
	v_pk_add_f32 v[20:21], v[20:21], v[66:67]
	v_pk_add_f32 v[64:65], v[24:25], v[26:27] op_sel:[0,1] op_sel_hi:[1,0]
	v_pk_add_f32 v[24:25], v[24:25], v[26:27] op_sel:[0,1] op_sel_hi:[1,0] neg_lo:[0,1] neg_hi:[0,1]
	v_pk_add_f32 v[20:21], v[20:21], v[54:55]
	v_mov_b32_e32 v26, v24
	v_mov_b32_e32 v27, v65
	v_accvgpr_read_b32 v1, a143
	ds_write2_b64 v1, v[20:21], v[26:27] offset0:4 offset1:247
	v_pk_add_f32 v[20:21], v[42:43], v[46:47]
	v_pk_add_f32 v[26:27], v[42:43], v[46:47] neg_lo:[0,1] neg_hi:[0,1]
	v_pk_fma_f32 v[20:21], v[20:21], 0.5, v[22:23] op_sel_hi:[1,0,1] neg_lo:[1,0,0] neg_hi:[1,0,0]
	v_pk_mul_f32 v[26:27], v[26:27], s[2:3] op_sel_hi:[1,0]
	v_pk_add_f32 v[22:23], v[22:23], v[42:43]
	v_pk_add_f32 v[42:43], v[20:21], v[26:27] op_sel:[0,1] op_sel_hi:[1,0]
	v_pk_add_f32 v[20:21], v[20:21], v[26:27] op_sel:[0,1] op_sel_hi:[1,0] neg_lo:[0,1] neg_hi:[0,1]
	v_pk_add_f32 v[22:23], v[22:23], v[46:47]
	v_mov_b32_e32 v26, v20
	v_mov_b32_e32 v27, v43
	v_accvgpr_read_b32 v1, a145
	;; [unrolled: 12-line block ×3, first 2 shown]
	ds_write2_b64 v1, v[16:17], v[26:27] offset0:6 offset1:249
	v_pk_add_f32 v[16:17], v[18:19], v[28:29]
	v_pk_add_f32 v[18:19], v[28:29], v[30:31] neg_lo:[0,1] neg_hi:[0,1]
	v_pk_add_f32 v[16:17], v[16:17], v[30:31]
	v_pk_mul_f32 v[18:19], v[18:19], s[2:3] op_sel_hi:[1,0]
	v_accvgpr_read_b32 v1, a151
	v_pk_add_f32 v[26:27], v[2:3], v[18:19] op_sel:[0,1] op_sel_hi:[1,0]
	v_pk_add_f32 v[2:3], v[2:3], v[18:19] op_sel:[0,1] op_sel_hi:[1,0] neg_lo:[0,1] neg_hi:[0,1]
	v_mov_b32_e32 v19, v27
	v_mov_b32_e32 v18, v2
	ds_write2_b64 v1, v[16:17], v[18:19] offset0:7 offset1:250
	v_mov_b32_e32 v1, v7
	v_pk_add_f32 v[6:7], v[4:5], v[0:1]
	v_pk_add_f32 v[4:5], v[4:5], v[0:1] neg_lo:[0,1] neg_hi:[0,1]
	v_pk_fma_f32 v[6:7], v[6:7], 0.5, v[10:11] op_sel_hi:[1,0,1] neg_lo:[1,0,0] neg_hi:[1,0,0]
	v_pk_mul_f32 v[4:5], v[4:5], s[2:3] op_sel_hi:[1,0]
	v_pk_add_f32 v[0:1], v[8:9], v[0:1]
	v_pk_add_f32 v[10:11], v[6:7], v[4:5] op_sel:[0,1] op_sel_hi:[1,0]
	v_pk_add_f32 v[4:5], v[6:7], v[4:5] op_sel:[0,1] op_sel_hi:[1,0] neg_lo:[0,1] neg_hi:[0,1]
	v_mov_b32_e32 v7, v11
	v_mov_b32_e32 v6, v4
	;; [unrolled: 1-line block ×9, first 2 shown]
	ds_write2_b64 v191, v[0:1], v[6:7] offset0:8 offset1:251
	ds_write_b64 v139, v[80:81] offset:15552
	ds_write_b64 v155, v[70:71] offset:21384
	;; [unrolled: 1-line block ×7, first 2 shown]
	s_waitcnt lgkmcnt(0)
	s_barrier
	ds_read2_b64 v[0:3], v119 offset0:6 offset1:249
	ds_read2_b64 v[8:11], v59 offset0:6 offset1:249
	ds_read2_b64 v[18:21], v195 offset1:243
	ds_read2_b64 v[26:29], v207 offset0:8 offset1:251
	ds_read2_b64 v[30:33], v111 offset0:10 offset1:253
	s_waitcnt lgkmcnt(4)
	v_pk_mul_f32 v[4:5], v[148:149], v[2:3] op_sel:[1,0]
	ds_read2_b64 v[36:39], v223 offset0:2 offset1:245
	v_pk_fma_f32 v[6:7], v[148:149], v[2:3], v[4:5] op_sel:[0,0,1] op_sel_hi:[1,1,0]
	v_pk_fma_f32 v[16:17], v[148:149], v[2:3], v[4:5] op_sel:[0,0,1] op_sel_hi:[0,1,0] neg_lo:[0,0,1] neg_hi:[0,0,1]
	v_pk_mul_f32 v[2:3], v[180:181], v[0:1] op_sel:[1,0]
	ds_read_b64 v[4:5], v216 offset:50544
	v_pk_fma_f32 v[14:15], v[180:181], v[0:1], v[2:3] op_sel:[0,0,1] op_sel_hi:[1,1,0]
	v_pk_fma_f32 v[2:3], v[180:181], v[0:1], v[2:3] op_sel:[0,0,1] op_sel_hi:[0,1,0] neg_lo:[0,0,1] neg_hi:[0,0,1]
	v_accvgpr_read_b32 v16, a234
	s_waitcnt lgkmcnt(5)
	v_pk_mul_f32 v[0:1], v[16:17], v[8:9] op_sel_hi:[0,1]
	v_accvgpr_read_b32 v2, a232
	v_pk_fma_f32 v[40:41], v[166:167], v[8:9], v[0:1] op_sel:[0,0,1] op_sel_hi:[1,1,0]
	v_pk_fma_f32 v[42:43], v[166:167], v[8:9], v[0:1] op_sel:[0,0,1] op_sel_hi:[0,1,0] neg_lo:[0,0,1] neg_hi:[0,0,1]
	v_pk_mul_f32 v[0:1], v[2:3], v[10:11] op_sel_hi:[0,1]
	v_pk_fma_f32 v[46:47], v[182:183], v[10:11], v[0:1] op_sel:[0,0,1] op_sel_hi:[1,1,0]
	v_pk_fma_f32 v[44:45], v[182:183], v[10:11], v[0:1] op_sel:[0,0,1] op_sel_hi:[0,1,0] neg_lo:[0,0,1] neg_hi:[0,0,1]
	v_accvgpr_read_b32 v0, a60
	s_waitcnt lgkmcnt(0)
	v_pk_mul_f32 v[8:9], v[0:1], v[4:5] op_sel_hi:[0,1]
	v_pk_fma_f32 v[10:11], v[62:63], v[4:5], v[8:9] op_sel:[0,0,1] op_sel_hi:[0,1,0] neg_lo:[0,0,1] neg_hi:[0,0,1]
	v_pk_fma_f32 v[0:1], v[62:63], v[4:5], v[8:9] op_sel:[0,0,1] op_sel_hi:[1,1,0]
	v_pk_mul_f32 v[8:9], v[60:61], v[20:21] op_sel:[1,0]
	v_pk_mul_f32 v[12:13], v[192:193], v[18:19] op_sel:[1,0]
	v_accvgpr_read_b32 v10, a240
	v_pk_fma_f32 v[4:5], v[60:61], v[20:21], v[8:9] op_sel:[0,0,1] op_sel_hi:[1,1,0]
	v_pk_fma_f32 v[22:23], v[60:61], v[20:21], v[8:9] op_sel:[0,0,1] op_sel_hi:[0,1,0] neg_lo:[0,0,1] neg_hi:[0,0,1]
	v_pk_fma_f32 v[8:9], v[192:193], v[18:19], v[12:13] op_sel:[0,0,1] op_sel_hi:[1,1,0]
	v_pk_fma_f32 v[20:21], v[192:193], v[18:19], v[12:13] op_sel:[0,0,1] op_sel_hi:[0,1,0] neg_lo:[0,0,1] neg_hi:[0,0,1]
	v_pk_mul_f32 v[18:19], v[10:11], v[28:29] op_sel_hi:[0,1]
	v_accvgpr_read_b32 v10, a238
	v_pk_fma_f32 v[12:13], v[194:195], v[28:29], v[18:19] op_sel:[0,0,1] op_sel_hi:[1,1,0]
	v_pk_fma_f32 v[18:19], v[194:195], v[28:29], v[18:19] op_sel:[0,0,1] op_sel_hi:[0,1,0] neg_lo:[0,0,1] neg_hi:[0,0,1]
	v_pk_mul_f32 v[28:29], v[10:11], v[26:27] op_sel_hi:[0,1]
	v_pk_mul_f32 v[34:35], v[168:169], v[32:33] op_sel:[1,0]
	v_pk_fma_f32 v[24:25], v[170:171], v[26:27], v[28:29] op_sel:[0,0,1] op_sel_hi:[1,1,0]
	v_pk_fma_f32 v[28:29], v[170:171], v[26:27], v[28:29] op_sel:[0,0,1] op_sel_hi:[0,1,0] neg_lo:[0,0,1] neg_hi:[0,0,1]
	v_pk_fma_f32 v[26:27], v[168:169], v[32:33], v[34:35] op_sel:[0,0,1] op_sel_hi:[1,1,0]
	v_pk_fma_f32 v[48:49], v[168:169], v[32:33], v[34:35] op_sel:[0,0,1] op_sel_hi:[0,1,0] neg_lo:[0,0,1] neg_hi:[0,0,1]
	ds_read2_b64 v[32:35], v227 offset0:12 offset1:255
	v_pk_mul_f32 v[54:55], v[148:149], v[30:31] op_sel:[1,0]
	v_accvgpr_read_b32 v10, a236
	v_pk_fma_f32 v[60:61], v[148:149], v[30:31], v[54:55] op_sel:[0,0,1] op_sel_hi:[1,1,0]
	v_pk_fma_f32 v[54:55], v[148:149], v[30:31], v[54:55] op_sel:[0,0,1] op_sel_hi:[0,1,0] neg_lo:[0,0,1] neg_hi:[0,0,1]
	s_waitcnt lgkmcnt(0)
	v_pk_mul_f32 v[30:31], v[10:11], v[32:33] op_sel_hi:[0,1]
	v_pk_fma_f32 v[62:63], v[150:151], v[32:33], v[30:31] op_sel:[0,0,1] op_sel_hi:[1,1,0]
	v_pk_fma_f32 v[64:65], v[150:151], v[32:33], v[30:31] op_sel:[0,0,1] op_sel_hi:[0,1,0] neg_lo:[0,0,1] neg_hi:[0,0,1]
	ds_read2_b64 v[30:33], v167 offset0:4 offset1:247
	v_pk_mul_f32 v[66:67], v[10:11], v[38:39] op_sel_hi:[0,1]
	v_pk_fma_f32 v[68:69], v[150:151], v[38:39], v[66:67] op_sel:[0,0,1] op_sel_hi:[1,1,0]
	v_pk_fma_f32 v[66:67], v[150:151], v[38:39], v[66:67] op_sel:[0,0,1] op_sel_hi:[0,1,0] neg_lo:[0,0,1] neg_hi:[0,0,1]
	v_pk_mul_f32 v[38:39], v[2:3], v[36:37] op_sel_hi:[0,1]
	v_pk_fma_f32 v[70:71], v[182:183], v[36:37], v[38:39] op_sel:[0,0,1] op_sel_hi:[1,1,0]
	v_pk_fma_f32 v[72:73], v[182:183], v[36:37], v[38:39] op_sel:[0,0,1] op_sel_hi:[0,1,0] neg_lo:[0,0,1] neg_hi:[0,0,1]
	s_waitcnt lgkmcnt(0)
	v_pk_mul_f32 v[36:37], v[180:181], v[32:33] op_sel:[1,0]
	v_mov_b32_e32 v41, v43
	v_pk_fma_f32 v[74:75], v[180:181], v[32:33], v[36:37] op_sel:[0,0,1] op_sel_hi:[1,1,0]
	v_pk_fma_f32 v[76:77], v[180:181], v[32:33], v[36:37] op_sel:[0,0,1] op_sel_hi:[0,1,0] neg_lo:[0,0,1] neg_hi:[0,0,1]
	ds_read2_b64 v[36:39], v115 offset0:8 offset1:251
	v_pk_mul_f32 v[32:33], v[164:165], v[30:31] op_sel:[1,0]
	v_mov_b32_e32 v15, v3
	v_pk_fma_f32 v[78:79], v[164:165], v[30:31], v[32:33] op_sel:[0,0,1] op_sel_hi:[1,1,0]
	v_pk_fma_f32 v[80:81], v[164:165], v[30:31], v[32:33] op_sel:[0,0,1] op_sel_hi:[0,1,0] neg_lo:[0,0,1] neg_hi:[0,0,1]
	v_pk_mul_f32 v[30:31], v[16:17], v[34:35] op_sel_hi:[0,1]
	v_pk_fma_f32 v[82:83], v[166:167], v[34:35], v[30:31] op_sel:[0,0,1] op_sel_hi:[1,1,0]
	v_pk_fma_f32 v[34:35], v[166:167], v[34:35], v[30:31] op_sel:[0,0,1] op_sel_hi:[0,1,0] neg_lo:[0,0,1] neg_hi:[0,0,1]
	s_waitcnt lgkmcnt(0)
	v_pk_mul_f32 v[30:31], v[164:165], v[38:39] op_sel:[1,0]
	v_mov_b32_e32 v47, v45
	v_pk_fma_f32 v[84:85], v[164:165], v[38:39], v[30:31] op_sel:[0,0,1] op_sel_hi:[1,1,0]
	v_pk_fma_f32 v[30:31], v[164:165], v[38:39], v[30:31] op_sel:[0,0,1] op_sel_hi:[0,1,0] neg_lo:[0,0,1] neg_hi:[0,0,1]
	v_mov_b32_e32 v85, v31
	ds_read2_b64 v[30:33], v216 offset1:243
	v_pk_add_f32 v[2:3], v[84:85], v[40:41]
	v_pk_add_f32 v[38:39], v[14:15], v[46:47]
	v_mov_b32_e32 v7, v17
	v_mov_b32_e32 v63, v65
	s_waitcnt lgkmcnt(0)
	v_pk_fma_f32 v[2:3], v[2:3], 0.5, v[30:31] op_sel_hi:[1,0,1] neg_lo:[1,0,0] neg_hi:[1,0,0]
	v_pk_add_f32 v[30:31], v[30:31], v[84:85]
	v_pk_fma_f32 v[86:87], v[38:39], 0.5, v[32:33] op_sel_hi:[1,0,1] neg_lo:[1,0,0] neg_hi:[1,0,0]
	v_pk_add_f32 v[90:91], v[30:31], v[40:41]
	v_pk_add_f32 v[30:31], v[84:85], v[40:41] neg_lo:[0,1] neg_hi:[0,1]
	v_pk_add_f32 v[88:89], v[32:33], v[14:15]
	v_pk_mul_f32 v[30:31], v[30:31], s[2:3] op_sel_hi:[1,0]
	v_pk_add_f32 v[16:17], v[6:7], v[62:63] neg_lo:[0,1] neg_hi:[0,1]
	v_pk_add_f32 v[84:85], v[2:3], v[30:31] op_sel:[0,1] op_sel_hi:[1,0] neg_lo:[0,1] neg_hi:[0,1]
	v_pk_add_f32 v[2:3], v[2:3], v[30:31] op_sel:[0,1] op_sel_hi:[1,0]
	ds_read2_b64 v[30:33], v215 offset0:6 offset1:249
	ds_read2_b64 v[38:41], v203 offset0:2 offset1:245
	;; [unrolled: 1-line block ×3, first 2 shown]
	v_mov_b32_e32 v93, v3
	v_mov_b32_e32 v3, v85
	s_waitcnt lgkmcnt(0)
	s_barrier
	v_mov_b32_e32 v92, v84
	ds_write_b64 v216, v[2:3] offset:11664
	v_pk_add_f32 v[2:3], v[88:89], v[46:47]
	ds_write_b64 v216, v[92:93] offset:5832
	ds_write2_b64 v216, v[90:91], v[2:3] offset1:243
	v_pk_add_f32 v[2:3], v[6:7], v[62:63]
	v_pk_add_f32 v[14:15], v[14:15], v[46:47] neg_lo:[0,1] neg_hi:[0,1]
	v_pk_fma_f32 v[2:3], v[2:3], 0.5, v[30:31] op_sel_hi:[1,0,1] neg_lo:[1,0,0] neg_hi:[1,0,0]
	v_pk_mul_f32 v[16:17], v[16:17], s[2:3] op_sel_hi:[1,0]
	v_pk_mul_f32 v[14:15], v[14:15], s[2:3] op_sel_hi:[1,0]
	v_pk_add_f32 v[64:65], v[2:3], v[16:17] op_sel:[0,1] op_sel_hi:[1,0] neg_lo:[0,1] neg_hi:[0,1]
	v_pk_add_f32 v[2:3], v[2:3], v[16:17] op_sel:[0,1] op_sel_hi:[1,0]
	v_pk_add_f32 v[16:17], v[86:87], v[14:15] op_sel:[0,1] op_sel_hi:[1,0] neg_lo:[0,1] neg_hi:[0,1]
	v_pk_add_f32 v[14:15], v[86:87], v[14:15] op_sel:[0,1] op_sel_hi:[1,0]
	v_pk_add_f32 v[6:7], v[30:31], v[6:7]
	v_mov_b32_e32 v31, v15
	v_mov_b32_e32 v15, v17
	;; [unrolled: 1-line block ×3, first 2 shown]
	v_pk_add_f32 v[6:7], v[6:7], v[62:63]
	ds_write_b64 v216, v[14:15] offset:13608
	ds_write_b64 v216, v[6:7] offset:3888
	v_mov_b32_e32 v83, v35
	v_pk_add_f32 v[14:15], v[32:33], v[78:79]
	v_mov_b32_e32 v30, v16
	v_mov_b32_e32 v6, v64
	;; [unrolled: 1-line block ×4, first 2 shown]
	v_pk_add_f32 v[14:15], v[14:15], v[82:83]
	v_mov_b32_e32 v75, v77
	v_mov_b32_e32 v71, v73
	ds_write2_b64 v107, v[30:31], v[6:7] offset0:12 offset1:255
	ds_write2_b64 v115, v[2:3], v[14:15] offset0:8 offset1:251
	v_pk_add_f32 v[2:3], v[74:75], v[70:71]
	v_pk_add_f32 v[14:15], v[74:75], v[70:71] neg_lo:[0,1] neg_hi:[0,1]
	v_pk_fma_f32 v[2:3], v[2:3], 0.5, v[42:43] op_sel_hi:[1,0,1] neg_lo:[1,0,0] neg_hi:[1,0,0]
	v_pk_mul_f32 v[14:15], v[14:15], s[2:3] op_sel_hi:[1,0]
	v_pk_add_f32 v[6:7], v[78:79], v[82:83]
	v_pk_add_f32 v[16:17], v[2:3], v[14:15] op_sel:[0,1] op_sel_hi:[1,0]
	v_pk_add_f32 v[2:3], v[2:3], v[14:15] op_sel:[0,1] op_sel_hi:[1,0] neg_lo:[0,1] neg_hi:[0,1]
	v_pk_add_f32 v[14:15], v[78:79], v[82:83] neg_lo:[0,1] neg_hi:[0,1]
	v_pk_fma_f32 v[6:7], v[6:7], 0.5, v[32:33] op_sel_hi:[1,0,1] neg_lo:[1,0,0] neg_hi:[1,0,0]
	v_pk_mul_f32 v[14:15], v[14:15], s[2:3] op_sel_hi:[1,0]
	v_mov_b32_e32 v32, v2
	v_pk_add_f32 v[30:31], v[6:7], v[14:15] op_sel:[0,1] op_sel_hi:[1,0]
	v_pk_add_f32 v[6:7], v[6:7], v[14:15] op_sel:[0,1] op_sel_hi:[1,0] neg_lo:[0,1] neg_hi:[0,1]
	v_mov_b32_e32 v15, v31
	v_mov_b32_e32 v14, v6
	;; [unrolled: 1-line block ×4, first 2 shown]
	ds_write2_b64 v167, v[14:15], v[32:33] offset0:4 offset1:247
	v_mov_b32_e32 v69, v67
	v_pk_add_f32 v[14:15], v[42:43], v[74:75]
	v_pk_add_f32 v[34:35], v[44:45], v[60:61]
	;; [unrolled: 1-line block ×5, first 2 shown]
	ds_write2_b64 v119, v[14:15], v[34:35] offset0:6 offset1:249
	v_pk_add_f32 v[14:15], v[60:61], v[68:69] neg_lo:[0,1] neg_hi:[0,1]
	v_pk_fma_f32 v[32:33], v[32:33], 0.5, v[44:45] op_sel_hi:[1,0,1] neg_lo:[1,0,0] neg_hi:[1,0,0]
	v_pk_mul_f32 v[14:15], v[14:15], s[2:3] op_sel_hi:[1,0]
	v_mov_b32_e32 v31, v7
	v_pk_add_f32 v[34:35], v[32:33], v[14:15] op_sel:[0,1] op_sel_hi:[1,0]
	v_pk_add_f32 v[14:15], v[32:33], v[14:15] op_sel:[0,1] op_sel_hi:[1,0] neg_lo:[0,1] neg_hi:[0,1]
	v_mov_b32_e32 v7, v35
	v_mov_b32_e32 v6, v14
	;; [unrolled: 1-line block ×4, first 2 shown]
	ds_write2_b64 v111, v[6:7], v[30:31] offset0:10 offset1:253
	v_mov_b32_e32 v17, v3
	v_pk_add_f32 v[2:3], v[4:5], v[0:1]
	v_pk_add_f32 v[6:7], v[4:5], v[0:1] neg_lo:[0,1] neg_hi:[0,1]
	v_pk_fma_f32 v[2:3], v[2:3], 0.5, v[36:37] op_sel_hi:[1,0,1] neg_lo:[1,0,0] neg_hi:[1,0,0]
	v_pk_mul_f32 v[6:7], v[6:7], s[2:3] op_sel_hi:[1,0]
	v_mov_b32_e32 v9, v21
	v_mov_b32_e32 v13, v19
	;; [unrolled: 1-line block ×3, first 2 shown]
	v_pk_add_f32 v[10:11], v[2:3], v[6:7] op_sel:[0,1] op_sel_hi:[1,0]
	v_pk_add_f32 v[2:3], v[2:3], v[6:7] op_sel:[0,1] op_sel_hi:[1,0] neg_lo:[0,1] neg_hi:[0,1]
	v_pk_add_f32 v[6:7], v[8:9], v[12:13]
	v_pk_add_f32 v[14:15], v[8:9], v[12:13] neg_lo:[0,1] neg_hi:[0,1]
	v_pk_fma_f32 v[6:7], v[6:7], 0.5, v[40:41] op_sel_hi:[1,0,1] neg_lo:[1,0,0] neg_hi:[1,0,0]
	v_pk_mul_f32 v[14:15], v[14:15], s[2:3] op_sel_hi:[1,0]
	v_mov_b32_e32 v27, v49
	v_mov_b32_e32 v25, v29
	ds_write2_b64 v195, v[16:17], v[34:35] offset1:243
	v_pk_add_f32 v[16:17], v[6:7], v[14:15] op_sel:[0,1] op_sel_hi:[1,0]
	v_pk_add_f32 v[6:7], v[6:7], v[14:15] op_sel:[0,1] op_sel_hi:[1,0] neg_lo:[0,1] neg_hi:[0,1]
	v_pk_add_f32 v[14:15], v[26:27], v[24:25]
	v_pk_add_f32 v[18:19], v[26:27], v[24:25] neg_lo:[0,1] neg_hi:[0,1]
	v_pk_fma_f32 v[14:15], v[14:15], 0.5, v[38:39] op_sel_hi:[1,0,1] neg_lo:[1,0,0] neg_hi:[1,0,0]
	v_pk_mul_f32 v[18:19], v[18:19], s[2:3] op_sel_hi:[1,0]
	v_pk_add_f32 v[8:9], v[40:41], v[8:9]
	v_pk_add_f32 v[20:21], v[14:15], v[18:19] op_sel:[0,1] op_sel_hi:[1,0]
	v_pk_add_f32 v[14:15], v[14:15], v[18:19] op_sel:[0,1] op_sel_hi:[1,0] neg_lo:[0,1] neg_hi:[0,1]
	v_pk_add_f32 v[18:19], v[38:39], v[26:27]
	v_pk_add_f32 v[4:5], v[36:37], v[4:5]
	;; [unrolled: 1-line block ×5, first 2 shown]
	ds_write_b64 v151, v[18:19] offset:34992
	v_mov_b32_e32 v18, v14
	v_mov_b32_e32 v19, v21
	v_mov_b32_e32 v21, v15
	ds_write_b64 v183, v[8:9] offset:34992
	v_mov_b32_e32 v8, v6
	v_mov_b32_e32 v9, v17
	v_mov_b32_e32 v17, v7
	;; [unrolled: 4-line block ×3, first 2 shown]
	ds_write_b64 v151, v[18:19] offset:40824
	ds_write_b64 v151, v[20:21] offset:46656
	;; [unrolled: 1-line block ×6, first 2 shown]
	s_waitcnt lgkmcnt(0)
	s_barrier
	ds_read2_b64 v[0:3], v115 offset0:8 offset1:251
	ds_read2_b64 v[8:11], v59 offset0:6 offset1:249
	ds_read2_b64 v[4:7], v216 offset1:243
	v_mov_b32_e32 v76, v59
	v_accvgpr_read_b32 v66, a66
	s_waitcnt lgkmcnt(2)
	v_pk_mul_f32 v[12:13], v[204:205], v[2:3] op_sel:[1,0]
	s_nop 0
	v_pk_fma_f32 v[28:29], v[204:205], v[2:3], v[12:13] op_sel:[0,0,1] op_sel_hi:[1,1,0]
	v_pk_fma_f32 v[2:3], v[204:205], v[2:3], v[12:13] op_sel:[0,0,1] op_sel_hi:[0,1,0] neg_lo:[0,0,1] neg_hi:[0,0,1]
	ds_read2_b64 v[12:15], v119 offset0:6 offset1:249
	v_accvgpr_read_b32 v2, a242
	v_mov_b32_e32 v29, v3
	s_waitcnt lgkmcnt(2)
	v_pk_mul_f32 v[2:3], v[2:3], v[8:9] op_sel_hi:[0,1]
	v_pk_fma_f32 v[30:31], v[206:207], v[8:9], v[2:3] op_sel:[0,0,1] op_sel_hi:[1,1,0]
	v_pk_fma_f32 v[2:3], v[206:207], v[8:9], v[2:3] op_sel:[0,0,1] op_sel_hi:[0,1,0] neg_lo:[0,0,1] neg_hi:[0,0,1]
	s_waitcnt lgkmcnt(0)
	v_pk_mul_f32 v[8:9], v[200:201], v[12:13] op_sel:[1,0]
	v_mov_b32_e32 v31, v3
	v_pk_fma_f32 v[32:33], v[200:201], v[12:13], v[8:9] op_sel:[0,0,1] op_sel_hi:[1,1,0]
	v_pk_fma_f32 v[8:9], v[200:201], v[12:13], v[8:9] op_sel:[0,0,1] op_sel_hi:[0,1,0] neg_lo:[0,0,1] neg_hi:[0,0,1]
	v_accvgpr_read_b32 v8, a244
	v_mov_b32_e32 v33, v9
	v_pk_mul_f32 v[8:9], v[8:9], v[10:11] op_sel_hi:[0,1]
	v_pk_fma_f32 v[34:35], v[202:203], v[10:11], v[8:9] op_sel:[0,0,1] op_sel_hi:[1,1,0]
	v_pk_fma_f32 v[8:9], v[202:203], v[10:11], v[8:9] op_sel:[0,0,1] op_sel_hi:[0,1,0] neg_lo:[0,0,1] neg_hi:[0,0,1]
	v_mov_b32_e32 v35, v9
	v_pk_add_f32 v[8:9], v[6:7], v[32:33]
	v_pk_mul_f32 v[12:13], v[212:213], v[14:15] op_sel:[1,0]
	v_pk_add_f32 v[36:37], v[8:9], v[34:35]
	ds_read2_b64 v[8:11], v215 offset0:6 offset1:249
	ds_read2_b64 v[16:19], v227 offset0:12 offset1:255
	v_pk_fma_f32 v[38:39], v[212:213], v[14:15], v[12:13] op_sel:[0,0,1] op_sel_hi:[1,1,0]
	v_pk_fma_f32 v[12:13], v[212:213], v[14:15], v[12:13] op_sel:[0,0,1] op_sel_hi:[0,1,0] neg_lo:[0,0,1] neg_hi:[0,0,1]
	v_accvgpr_read_b32 v12, a246
	v_mov_b32_e32 v39, v13
	s_waitcnt lgkmcnt(0)
	v_pk_mul_f32 v[20:21], v[12:13], v[16:17] op_sel_hi:[0,1]
	ds_read2_b64 v[12:15], v167 offset0:4 offset1:247
	v_pk_fma_f32 v[40:41], v[214:215], v[16:17], v[20:21] op_sel:[0,0,1] op_sel_hi:[1,1,0]
	v_pk_fma_f32 v[16:17], v[214:215], v[16:17], v[20:21] op_sel:[0,0,1] op_sel_hi:[0,1,0] neg_lo:[0,0,1] neg_hi:[0,0,1]
	v_mov_b32_e32 v41, v17
	v_pk_add_f32 v[16:17], v[8:9], v[38:39]
	v_pk_add_f32 v[2:3], v[4:5], v[28:29]
	;; [unrolled: 1-line block ×3, first 2 shown]
	s_waitcnt lgkmcnt(0)
	v_pk_mul_f32 v[16:17], v[56:57], v[12:13] op_sel:[1,0]
	v_pk_add_f32 v[2:3], v[2:3], v[30:31]
	v_pk_fma_f32 v[44:45], v[56:57], v[12:13], v[16:17] op_sel:[0,0,1] op_sel_hi:[1,1,0]
	v_pk_fma_f32 v[12:13], v[56:57], v[12:13], v[16:17] op_sel:[0,0,1] op_sel_hi:[0,1,0] neg_lo:[0,0,1] neg_hi:[0,0,1]
	v_accvgpr_read_b32 v12, a248
	v_mov_b32_e32 v45, v13
	v_pk_mul_f32 v[12:13], v[12:13], v[18:19] op_sel_hi:[0,1]
	v_pk_fma_f32 v[46:47], v[58:59], v[18:19], v[12:13] op_sel:[0,0,1] op_sel_hi:[1,1,0]
	v_pk_fma_f32 v[12:13], v[58:59], v[18:19], v[12:13] op_sel:[0,0,1] op_sel_hi:[0,1,0] neg_lo:[0,0,1] neg_hi:[0,0,1]
	ds_read2_b64 v[16:19], v107 offset0:12 offset1:255
	ds_read2_b64 v[20:23], v223 offset0:2 offset1:245
	v_mov_b32_e32 v47, v13
	v_pk_add_f32 v[12:13], v[10:11], v[44:45]
	s_nop 0
	v_pk_add_f32 v[48:49], v[12:13], v[46:47]
	v_pk_mul_f32 v[12:13], v[220:221], v[14:15] op_sel:[1,0]
	s_nop 0
	v_pk_fma_f32 v[54:55], v[220:221], v[14:15], v[12:13] op_sel:[0,0,1] op_sel_hi:[1,1,0]
	v_pk_fma_f32 v[12:13], v[220:221], v[14:15], v[12:13] op_sel:[0,0,1] op_sel_hi:[0,1,0] neg_lo:[0,0,1] neg_hi:[0,0,1]
	v_accvgpr_read_b32 v12, a250
	v_mov_b32_e32 v55, v13
	s_waitcnt lgkmcnt(0)
	v_pk_mul_f32 v[24:25], v[12:13], v[20:21] op_sel_hi:[0,1]
	ds_read2_b64 v[12:15], v111 offset0:10 offset1:253
	v_pk_fma_f32 v[56:57], v[222:223], v[20:21], v[24:25] op_sel:[0,0,1] op_sel_hi:[1,1,0]
	v_pk_fma_f32 v[20:21], v[222:223], v[20:21], v[24:25] op_sel:[0,0,1] op_sel_hi:[0,1,0] neg_lo:[0,0,1] neg_hi:[0,0,1]
	v_mov_b32_e32 v57, v21
	v_pk_add_f32 v[20:21], v[16:17], v[54:55]
	s_nop 0
	v_pk_add_f32 v[58:59], v[20:21], v[56:57]
	s_waitcnt lgkmcnt(0)
	v_pk_mul_f32 v[20:21], v[50:51], v[12:13] op_sel:[1,0]
	s_nop 0
	v_pk_fma_f32 v[60:61], v[50:51], v[12:13], v[20:21] op_sel:[0,0,1] op_sel_hi:[1,1,0]
	v_pk_fma_f32 v[12:13], v[50:51], v[12:13], v[20:21] op_sel:[0,0,1] op_sel_hi:[0,1,0] neg_lo:[0,0,1] neg_hi:[0,0,1]
	v_accvgpr_read_b32 v12, a252
	v_mov_b32_e32 v61, v13
	v_pk_mul_f32 v[12:13], v[12:13], v[22:23] op_sel_hi:[0,1]
	v_pk_fma_f32 v[50:51], v[52:53], v[22:23], v[12:13] op_sel:[0,0,1] op_sel_hi:[1,1,0]
	v_pk_fma_f32 v[12:13], v[52:53], v[22:23], v[12:13] op_sel:[0,0,1] op_sel_hi:[0,1,0] neg_lo:[0,0,1] neg_hi:[0,0,1]
	ds_read2_b64 v[20:23], v207 offset0:8 offset1:251
	v_mov_b32_e32 v51, v13
	v_pk_add_f32 v[12:13], v[18:19], v[60:61]
	s_waitcnt lgkmcnt(0)
	v_pk_mul_f32 v[66:67], v[66:67], v[22:23] op_sel_hi:[0,1]
	v_pk_add_f32 v[52:53], v[12:13], v[50:51]
	v_pk_mul_f32 v[12:13], v[228:229], v[14:15] op_sel:[1,0]
	v_pk_fma_f32 v[68:69], v[226:227], v[22:23], v[66:67] op_sel:[0,0,1] op_sel_hi:[1,1,0]
	v_pk_fma_f32 v[24:25], v[228:229], v[14:15], v[12:13] op_sel:[0,0,1] op_sel_hi:[0,1,0] neg_lo:[0,0,1] neg_hi:[0,0,1]
	v_pk_fma_f32 v[62:63], v[228:229], v[14:15], v[12:13] op_sel:[0,0,1] op_sel_hi:[1,1,0]
	v_accvgpr_read_b32 v24, a64
	v_mov_b32_e32 v63, v25
	v_pk_mul_f32 v[24:25], v[24:25], v[20:21] op_sel_hi:[0,1]
	v_pk_fma_f32 v[64:65], v[230:231], v[20:21], v[24:25] op_sel:[0,0,1] op_sel_hi:[1,1,0]
	v_pk_fma_f32 v[20:21], v[230:231], v[20:21], v[24:25] op_sel:[0,0,1] op_sel_hi:[0,1,0] neg_lo:[0,0,1] neg_hi:[0,0,1]
	ds_read2_b64 v[24:27], v195 offset1:243
	v_pk_fma_f32 v[22:23], v[226:227], v[22:23], v[66:67] op_sel:[0,0,1] op_sel_hi:[0,1,0] neg_lo:[0,0,1] neg_hi:[0,0,1]
	ds_read2_b64 v[12:15], v203 offset0:2 offset1:245
	v_mov_b32_e32 v65, v21
	v_mov_b32_e32 v69, v23
	s_waitcnt lgkmcnt(1)
	v_pk_mul_f32 v[66:67], v[224:225], v[24:25] op_sel:[1,0]
	s_waitcnt lgkmcnt(0)
	v_pk_add_f32 v[20:21], v[12:13], v[62:63]
	v_pk_fma_f32 v[70:71], v[224:225], v[24:25], v[66:67] op_sel:[0,0,1] op_sel_hi:[1,1,0]
	v_pk_fma_f32 v[24:25], v[224:225], v[24:25], v[66:67] op_sel:[0,0,1] op_sel_hi:[0,1,0] neg_lo:[0,0,1] neg_hi:[0,0,1]
	v_mov_b32_e32 v71, v25
	ds_read_b64 v[24:25], v216 offset:50544
	v_pk_mul_f32 v[66:67], v[232:233], v[26:27] op_sel:[1,0]
	v_pk_add_f32 v[22:23], v[14:15], v[70:71]
	v_pk_fma_f32 v[72:73], v[232:233], v[26:27], v[66:67] op_sel:[0,0,1] op_sel_hi:[1,1,0]
	v_pk_fma_f32 v[26:27], v[232:233], v[26:27], v[66:67] op_sel:[0,0,1] op_sel_hi:[0,1,0] neg_lo:[0,0,1] neg_hi:[0,0,1]
	v_accvgpr_read_b32 v26, a62
	v_mov_b32_e32 v73, v27
	s_waitcnt lgkmcnt(0)
	v_pk_mul_f32 v[26:27], v[26:27], v[24:25] op_sel_hi:[0,1]
	v_pk_fma_f32 v[66:67], v[234:235], v[24:25], v[26:27] op_sel:[0,0,1] op_sel_hi:[1,1,0]
	v_pk_fma_f32 v[24:25], v[234:235], v[24:25], v[26:27] op_sel:[0,0,1] op_sel_hi:[0,1,0] neg_lo:[0,0,1] neg_hi:[0,0,1]
	v_pk_add_f32 v[26:27], v[28:29], v[30:31]
	v_pk_add_f32 v[20:21], v[20:21], v[64:65]
	v_pk_fma_f32 v[4:5], v[26:27], 0.5, v[4:5] op_sel_hi:[1,0,1] neg_lo:[1,0,0] neg_hi:[1,0,0]
	v_pk_add_f32 v[26:27], v[28:29], v[30:31] neg_lo:[0,1] neg_hi:[0,1]
	v_pk_add_f32 v[22:23], v[22:23], v[68:69]
	v_pk_mul_f32 v[26:27], v[26:27], s[2:3] op_sel_hi:[1,0]
	v_mov_b32_e32 v67, v25
	v_pk_add_f32 v[28:29], v[4:5], v[26:27] op_sel:[0,1] op_sel_hi:[1,0] neg_lo:[0,1] neg_hi:[0,1]
	v_pk_add_f32 v[4:5], v[4:5], v[26:27] op_sel:[0,1] op_sel_hi:[1,0]
	v_mov_b32_e32 v26, v28
	v_mov_b32_e32 v27, v5
	;; [unrolled: 1-line block ×3, first 2 shown]
	v_pk_add_f32 v[28:29], v[32:33], v[34:35]
	v_pk_add_f32 v[24:25], v[0:1], v[72:73]
	v_pk_fma_f32 v[6:7], v[28:29], 0.5, v[6:7] op_sel_hi:[1,0,1] neg_lo:[1,0,0] neg_hi:[1,0,0]
	v_pk_add_f32 v[28:29], v[32:33], v[34:35] neg_lo:[0,1] neg_hi:[0,1]
	v_pk_add_f32 v[24:25], v[24:25], v[66:67]
	v_pk_mul_f32 v[28:29], v[28:29], s[2:3] op_sel_hi:[1,0]
	s_nop 0
	v_pk_add_f32 v[30:31], v[6:7], v[28:29] op_sel:[0,1] op_sel_hi:[1,0] neg_lo:[0,1] neg_hi:[0,1]
	v_pk_add_f32 v[6:7], v[6:7], v[28:29] op_sel:[0,1] op_sel_hi:[1,0]
	v_mov_b32_e32 v28, v30
	v_mov_b32_e32 v29, v7
	;; [unrolled: 1-line block ×3, first 2 shown]
	ds_write2_b64 v76, v[4:5], v[6:7] offset0:6 offset1:249
	v_pk_add_f32 v[4:5], v[38:39], v[40:41]
	v_pk_add_f32 v[6:7], v[38:39], v[40:41] neg_lo:[0,1] neg_hi:[0,1]
	v_pk_fma_f32 v[4:5], v[4:5], 0.5, v[8:9] op_sel_hi:[1,0,1] neg_lo:[1,0,0] neg_hi:[1,0,0]
	v_pk_mul_f32 v[6:7], v[6:7], s[2:3] op_sel_hi:[1,0]
	ds_write2_b64 v217, v[26:27], v[28:29] offset0:11 offset1:254
	v_pk_add_f32 v[8:9], v[4:5], v[6:7] op_sel:[0,1] op_sel_hi:[1,0] neg_lo:[0,1] neg_hi:[0,1]
	v_pk_add_f32 v[4:5], v[4:5], v[6:7] op_sel:[0,1] op_sel_hi:[1,0]
	v_mov_b32_e32 v6, v8
	v_mov_b32_e32 v7, v5
	;; [unrolled: 1-line block ×3, first 2 shown]
	ds_write_b64 v216, v[6:7] offset:21384
	ds_write_b64 v216, v[4:5] offset:38880
	ds_write2_b64 v216, v[2:3], v[36:37] offset1:243
	ds_write2_b64 v215, v[42:43], v[48:49] offset0:6 offset1:249
	v_pk_add_f32 v[2:3], v[44:45], v[46:47]
	v_pk_add_f32 v[4:5], v[44:45], v[46:47] neg_lo:[0,1] neg_hi:[0,1]
	v_pk_fma_f32 v[2:3], v[2:3], 0.5, v[10:11] op_sel_hi:[1,0,1] neg_lo:[1,0,0] neg_hi:[1,0,0]
	v_pk_mul_f32 v[4:5], v[4:5], s[2:3] op_sel_hi:[1,0]
	v_pk_add_f32 v[8:9], v[54:55], v[56:57] neg_lo:[0,1] neg_hi:[0,1]
	v_pk_add_f32 v[6:7], v[2:3], v[4:5] op_sel:[0,1] op_sel_hi:[1,0] neg_lo:[0,1] neg_hi:[0,1]
	v_pk_add_f32 v[2:3], v[2:3], v[4:5] op_sel:[0,1] op_sel_hi:[1,0]
	v_mov_b32_e32 v4, v6
	v_mov_b32_e32 v5, v3
	v_mov_b32_e32 v3, v7
	v_pk_add_f32 v[6:7], v[54:55], v[56:57]
	v_pk_mul_f32 v[8:9], v[8:9], s[2:3] op_sel_hi:[1,0]
	v_pk_fma_f32 v[6:7], v[6:7], 0.5, v[16:17] op_sel_hi:[1,0,1] neg_lo:[1,0,0] neg_hi:[1,0,0]
	s_nop 0
	v_pk_add_f32 v[10:11], v[6:7], v[8:9] op_sel:[0,1] op_sel_hi:[1,0] neg_lo:[0,1] neg_hi:[0,1]
	v_pk_add_f32 v[6:7], v[6:7], v[8:9] op_sel:[0,1] op_sel_hi:[1,0]
	v_mov_b32_e32 v8, v10
	v_mov_b32_e32 v9, v7
	;; [unrolled: 1-line block ×3, first 2 shown]
	ds_write2_b64 v167, v[4:5], v[8:9] offset0:4 offset1:247
	ds_write2_b64 v231, v[2:3], v[6:7] offset0:7 offset1:250
	;; [unrolled: 1-line block ×3, first 2 shown]
	v_pk_add_f32 v[2:3], v[60:61], v[50:51]
	v_pk_add_f32 v[4:5], v[60:61], v[50:51] neg_lo:[0,1] neg_hi:[0,1]
	v_pk_fma_f32 v[2:3], v[2:3], 0.5, v[18:19] op_sel_hi:[1,0,1] neg_lo:[1,0,0] neg_hi:[1,0,0]
	v_pk_mul_f32 v[4:5], v[4:5], s[2:3] op_sel_hi:[1,0]
	v_pk_add_f32 v[8:9], v[62:63], v[64:65] neg_lo:[0,1] neg_hi:[0,1]
	v_pk_add_f32 v[6:7], v[2:3], v[4:5] op_sel:[0,1] op_sel_hi:[1,0] neg_lo:[0,1] neg_hi:[0,1]
	v_pk_add_f32 v[2:3], v[2:3], v[4:5] op_sel:[0,1] op_sel_hi:[1,0]
	v_mov_b32_e32 v4, v6
	v_mov_b32_e32 v5, v3
	;; [unrolled: 1-line block ×3, first 2 shown]
	v_pk_add_f32 v[6:7], v[62:63], v[64:65]
	v_pk_mul_f32 v[8:9], v[8:9], s[2:3] op_sel_hi:[1,0]
	v_pk_fma_f32 v[6:7], v[6:7], 0.5, v[12:13] op_sel_hi:[1,0,1] neg_lo:[1,0,0] neg_hi:[1,0,0]
	s_nop 0
	v_pk_add_f32 v[10:11], v[6:7], v[8:9] op_sel:[0,1] op_sel_hi:[1,0] neg_lo:[0,1] neg_hi:[0,1]
	v_pk_add_f32 v[6:7], v[6:7], v[8:9] op_sel:[0,1] op_sel_hi:[1,0]
	v_mov_b32_e32 v8, v10
	v_mov_b32_e32 v9, v7
	;; [unrolled: 1-line block ×3, first 2 shown]
	ds_write2_b64 v111, v[4:5], v[8:9] offset0:10 offset1:253
	ds_write2_b64 v235, v[2:3], v[6:7] offset0:5 offset1:248
	;; [unrolled: 1-line block ×3, first 2 shown]
	v_pk_add_f32 v[2:3], v[70:71], v[68:69]
	v_pk_add_f32 v[4:5], v[70:71], v[68:69] neg_lo:[0,1] neg_hi:[0,1]
	v_pk_fma_f32 v[2:3], v[2:3], 0.5, v[14:15] op_sel_hi:[1,0,1] neg_lo:[1,0,0] neg_hi:[1,0,0]
	v_pk_mul_f32 v[4:5], v[4:5], s[2:3] op_sel_hi:[1,0]
	ds_write_b64 v216, v[24:25] offset:15552
	v_pk_add_f32 v[6:7], v[2:3], v[4:5] op_sel:[0,1] op_sel_hi:[1,0] neg_lo:[0,1] neg_hi:[0,1]
	v_pk_add_f32 v[2:3], v[2:3], v[4:5] op_sel:[0,1] op_sel_hi:[1,0]
	v_mov_b32_e32 v4, v6
	v_mov_b32_e32 v5, v3
	;; [unrolled: 1-line block ×3, first 2 shown]
	v_pk_add_f32 v[6:7], v[72:73], v[66:67]
	v_accvgpr_read_b32 v10, a12
	v_pk_fma_f32 v[0:1], v[6:7], 0.5, v[0:1] op_sel_hi:[1,0,1] neg_lo:[1,0,0] neg_hi:[1,0,0]
	v_pk_add_f32 v[6:7], v[72:73], v[66:67] neg_lo:[0,1] neg_hi:[0,1]
	v_accvgpr_read_b32 v11, a13
	v_pk_mul_f32 v[6:7], v[6:7], s[2:3] op_sel_hi:[1,0]
	v_accvgpr_read_b32 v14, a0
	v_pk_add_f32 v[8:9], v[0:1], v[6:7] op_sel:[0,1] op_sel_hi:[1,0] neg_lo:[0,1] neg_hi:[0,1]
	v_pk_add_f32 v[0:1], v[0:1], v[6:7] op_sel:[0,1] op_sel_hi:[1,0]
	v_mov_b32_e32 v6, v8
	v_mov_b32_e32 v7, v1
	ds_write2_b64 v195, v[4:5], v[6:7] offset1:243
	v_mov_b32_e32 v1, v9
	v_accvgpr_read_b32 v4, a58
	ds_write2_b64 v4, v[2:3], v[0:1] offset0:11 offset1:254
	s_waitcnt lgkmcnt(0)
	s_barrier
	ds_read2_b64 v[2:5], v216 offset1:243
	v_accvgpr_read_b32 v8, a12
	v_accvgpr_read_b32 v9, a13
	v_mov_b32_e32 v6, s0
	v_mov_b32_e32 v7, s1
	s_waitcnt lgkmcnt(0)
	v_mul_f32_e32 v0, v9, v3
	v_fmac_f32_e32 v0, v8, v2
	s_mov_b32 s0, 0xab547995
	v_cvt_f64_f32_e32 v[0:1], v0
	s_mov_b32 s1, 0x3f23fa39
	v_mul_f64 v[0:1], v[0:1], s[0:1]
	v_cvt_f32_f64_e32 v8, v[0:1]
	v_mul_f32_e32 v0, v11, v2
	v_fma_f32 v0, v10, v3, -v0
	v_cvt_f64_f32_e32 v[0:1], v0
	v_accvgpr_read_b32 v2, a74
	v_mul_f64 v[0:1], v[0:1], s[0:1]
	v_mad_u64_u32 v[10:11], s[2:3], s4, v2, 0
	v_cvt_f32_f64_e32 v9, v[0:1]
	v_mov_b32_e32 v0, v11
	v_accvgpr_read_b32 v15, a2
	v_mad_u64_u32 v[12:13], s[2:3], s5, v2, v[0:1]
	ds_read2_b64 v[0:3], v115 offset0:8 offset1:251
	v_mov_b32_e32 v11, v12
	v_lshl_add_u64 v[6:7], v[14:15], 3, v[6:7]
	v_lshl_add_u64 v[10:11], v[10:11], 3, v[6:7]
	global_store_dwordx2 v[10:11], v[8:9], off
	v_accvgpr_read_b32 v8, a56
	v_accvgpr_read_b32 v9, a57
	s_waitcnt lgkmcnt(0)
	v_mul_f32_e32 v6, v9, v3
	v_fmac_f32_e32 v6, v8, v2
	v_mul_f32_e32 v2, v9, v2
	v_fma_f32 v2, v8, v3, -v2
	v_cvt_f64_f32_e32 v[6:7], v6
	v_cvt_f64_f32_e32 v[2:3], v2
	v_mul_f64 v[6:7], v[6:7], s[0:1]
	v_mul_f64 v[2:3], v[2:3], s[0:1]
	v_mov_b32_e32 v14, 0x4458
	v_cvt_f32_f64_e32 v12, v[6:7]
	v_cvt_f32_f64_e32 v13, v[2:3]
	ds_read2_b64 v[6:9], v76 offset0:6 offset1:249
	v_mad_u64_u32 v[2:3], s[2:3], s4, v14, v[10:11]
	s_mul_i32 s2, s5, 0x4458
	s_nop 0
	v_add_u32_e32 v3, s2, v3
	global_store_dwordx2 v[2:3], v[12:13], off
	v_accvgpr_read_b32 v12, a54
	v_accvgpr_read_b32 v13, a55
	s_waitcnt lgkmcnt(0)
	v_mul_f32_e32 v10, v13, v7
	v_fmac_f32_e32 v10, v12, v6
	v_mul_f32_e32 v6, v13, v6
	v_fma_f32 v6, v12, v7, -v6
	v_cvt_f64_f32_e32 v[10:11], v10
	v_cvt_f64_f32_e32 v[6:7], v6
	v_mul_f64 v[10:11], v[10:11], s[0:1]
	v_mul_f64 v[6:7], v[6:7], s[0:1]
	v_mad_u64_u32 v[2:3], s[6:7], s4, v14, v[2:3]
	v_cvt_f32_f64_e32 v10, v[10:11]
	v_cvt_f32_f64_e32 v11, v[6:7]
	v_add_u32_e32 v3, s2, v3
	global_store_dwordx2 v[2:3], v[10:11], off
	v_accvgpr_read_b32 v10, a52
	v_accvgpr_read_b32 v11, a53
	v_mul_f32_e32 v6, v11, v5
	v_fmac_f32_e32 v6, v10, v4
	v_mul_f32_e32 v4, v11, v4
	v_fma_f32 v4, v10, v5, -v4
	v_cvt_f64_f32_e32 v[6:7], v6
	v_cvt_f64_f32_e32 v[4:5], v4
	v_mul_f64 v[6:7], v[6:7], s[0:1]
	v_mul_f64 v[4:5], v[4:5], s[0:1]
	v_mov_b32_e32 v13, 0xffff7ee8
	v_cvt_f32_f64_e32 v6, v[6:7]
	v_cvt_f32_f64_e32 v7, v[4:5]
	v_mad_u64_u32 v[10:11], s[6:7], s4, v13, v[2:3]
	ds_read2_b64 v[2:5], v119 offset0:6 offset1:249
	s_mul_i32 s3, s5, 0xffff7ee8
	s_sub_i32 s3, s3, s4
	v_accvgpr_read_b32 v14, a46
	v_add_u32_e32 v11, s3, v11
	v_accvgpr_read_b32 v15, a47
	global_store_dwordx2 v[10:11], v[6:7], off
	s_waitcnt lgkmcnt(0)
	v_mul_f32_e32 v6, v15, v3
	v_fmac_f32_e32 v6, v14, v2
	v_mul_f32_e32 v2, v15, v2
	v_fma_f32 v2, v14, v3, -v2
	v_cvt_f64_f32_e32 v[6:7], v6
	v_cvt_f64_f32_e32 v[2:3], v2
	v_mov_b32_e32 v12, 0x4458
	v_mul_f64 v[6:7], v[6:7], s[0:1]
	v_mul_f64 v[2:3], v[2:3], s[0:1]
	v_cvt_f32_f64_e32 v6, v[6:7]
	v_cvt_f32_f64_e32 v7, v[2:3]
	v_mad_u64_u32 v[2:3], s[6:7], s4, v12, v[10:11]
	v_accvgpr_read_b32 v14, a44
	v_add_u32_e32 v3, s2, v3
	v_accvgpr_read_b32 v15, a45
	global_store_dwordx2 v[2:3], v[6:7], off
	v_mul_f32_e32 v6, v15, v9
	v_fmac_f32_e32 v6, v14, v8
	v_cvt_f64_f32_e32 v[6:7], v6
	v_mul_f64 v[6:7], v[6:7], s[0:1]
	v_cvt_f32_f64_e32 v10, v[6:7]
	v_mul_f32_e32 v6, v15, v8
	v_fma_f32 v6, v14, v9, -v6
	v_cvt_f64_f32_e32 v[6:7], v6
	v_mul_f64 v[6:7], v[6:7], s[0:1]
	v_cvt_f32_f64_e32 v11, v[6:7]
	ds_read2_b64 v[6:9], v215 offset0:6 offset1:249
	v_mad_u64_u32 v[2:3], s[6:7], s4, v12, v[2:3]
	v_accvgpr_read_b32 v14, a38
	v_add_u32_e32 v3, s2, v3
	v_accvgpr_read_b32 v15, a39
	global_store_dwordx2 v[2:3], v[10:11], off
	s_waitcnt lgkmcnt(0)
	v_mul_f32_e32 v10, v15, v7
	v_fmac_f32_e32 v10, v14, v6
	v_mul_f32_e32 v6, v15, v6
	v_fma_f32 v6, v14, v7, -v6
	v_cvt_f64_f32_e32 v[10:11], v10
	v_cvt_f64_f32_e32 v[6:7], v6
	v_accvgpr_read_b32 v14, a34
	v_mul_f64 v[10:11], v[10:11], s[0:1]
	v_mul_f64 v[6:7], v[6:7], s[0:1]
	v_accvgpr_read_b32 v15, a35
	v_cvt_f32_f64_e32 v10, v[10:11]
	v_cvt_f32_f64_e32 v11, v[6:7]
	v_mad_u64_u32 v[6:7], s[6:7], s4, v13, v[2:3]
	v_mul_f32_e32 v2, v15, v5
	v_fmac_f32_e32 v2, v14, v4
	v_cvt_f64_f32_e32 v[2:3], v2
	v_add_u32_e32 v7, s3, v7
	v_mul_f64 v[2:3], v[2:3], s[0:1]
	global_store_dwordx2 v[6:7], v[10:11], off
	v_cvt_f32_f64_e32 v10, v[2:3]
	v_mul_f32_e32 v2, v15, v4
	v_fma_f32 v2, v14, v5, -v2
	v_cvt_f64_f32_e32 v[2:3], v2
	v_mul_f64 v[2:3], v[2:3], s[0:1]
	v_cvt_f32_f64_e32 v11, v[2:3]
	ds_read2_b64 v[2:5], v227 offset0:12 offset1:255
	v_mad_u64_u32 v[6:7], s[6:7], s4, v12, v[6:7]
	v_accvgpr_read_b32 v14, a30
	v_add_u32_e32 v7, s2, v7
	v_accvgpr_read_b32 v15, a31
	global_store_dwordx2 v[6:7], v[10:11], off
	s_waitcnt lgkmcnt(0)
	v_mul_f32_e32 v10, v15, v3
	v_fmac_f32_e32 v10, v14, v2
	v_mul_f32_e32 v2, v15, v2
	v_fma_f32 v2, v14, v3, -v2
	v_cvt_f64_f32_e32 v[10:11], v10
	v_cvt_f64_f32_e32 v[2:3], v2
	v_accvgpr_read_b32 v14, a28
	v_mul_f64 v[10:11], v[10:11], s[0:1]
	v_mul_f64 v[2:3], v[2:3], s[0:1]
	v_accvgpr_read_b32 v15, a29
	v_cvt_f32_f64_e32 v10, v[10:11]
	v_cvt_f32_f64_e32 v11, v[2:3]
	v_mad_u64_u32 v[2:3], s[6:7], s4, v12, v[6:7]
	v_mul_f32_e32 v6, v15, v9
	v_fmac_f32_e32 v6, v14, v8
	v_cvt_f64_f32_e32 v[6:7], v6
	v_add_u32_e32 v3, s2, v3
	v_mul_f64 v[6:7], v[6:7], s[0:1]
	global_store_dwordx2 v[2:3], v[10:11], off
	v_cvt_f32_f64_e32 v10, v[6:7]
	v_mul_f32_e32 v6, v15, v8
	v_fma_f32 v6, v14, v9, -v6
	v_cvt_f64_f32_e32 v[6:7], v6
	v_mul_f64 v[6:7], v[6:7], s[0:1]
	v_cvt_f32_f64_e32 v11, v[6:7]
	ds_read2_b64 v[6:9], v167 offset0:4 offset1:247
	v_mov_b32_e32 v13, 0xffff7ee8
	v_mad_u64_u32 v[2:3], s[6:7], s4, v13, v[2:3]
	v_accvgpr_read_b32 v14, a50
	v_add_u32_e32 v3, s3, v3
	v_accvgpr_read_b32 v15, a51
	global_store_dwordx2 v[2:3], v[10:11], off
	s_waitcnt lgkmcnt(0)
	v_mul_f32_e32 v10, v15, v7
	v_fmac_f32_e32 v10, v14, v6
	v_mul_f32_e32 v6, v15, v6
	v_fma_f32 v6, v14, v7, -v6
	v_cvt_f64_f32_e32 v[10:11], v10
	v_cvt_f64_f32_e32 v[6:7], v6
	v_accvgpr_read_b32 v14, a48
	v_mul_f64 v[10:11], v[10:11], s[0:1]
	v_mul_f64 v[6:7], v[6:7], s[0:1]
	v_accvgpr_read_b32 v15, a49
	v_cvt_f32_f64_e32 v10, v[10:11]
	v_cvt_f32_f64_e32 v11, v[6:7]
	v_mad_u64_u32 v[6:7], s[6:7], s4, v12, v[2:3]
	v_mul_f32_e32 v2, v15, v5
	v_fmac_f32_e32 v2, v14, v4
	v_cvt_f64_f32_e32 v[2:3], v2
	v_add_u32_e32 v7, s2, v7
	v_mul_f64 v[2:3], v[2:3], s[0:1]
	global_store_dwordx2 v[6:7], v[10:11], off
	v_cvt_f32_f64_e32 v10, v[2:3]
	v_mul_f32_e32 v2, v15, v4
	v_fma_f32 v2, v14, v5, -v2
	v_cvt_f64_f32_e32 v[2:3], v2
	v_mul_f64 v[2:3], v[2:3], s[0:1]
	v_cvt_f32_f64_e32 v11, v[2:3]
	ds_read2_b64 v[2:5], v107 offset0:12 offset1:255
	v_mad_u64_u32 v[6:7], s[6:7], s4, v12, v[6:7]
	v_accvgpr_read_b32 v14, a42
	v_add_u32_e32 v7, s2, v7
	v_accvgpr_read_b32 v15, a43
	global_store_dwordx2 v[6:7], v[10:11], off
	s_waitcnt lgkmcnt(0)
	v_mul_f32_e32 v10, v15, v3
	v_fmac_f32_e32 v10, v14, v2
	v_mul_f32_e32 v2, v15, v2
	v_fma_f32 v2, v14, v3, -v2
	v_cvt_f64_f32_e32 v[10:11], v10
	v_cvt_f64_f32_e32 v[2:3], v2
	v_accvgpr_read_b32 v14, a40
	v_mul_f64 v[10:11], v[10:11], s[0:1]
	v_mul_f64 v[2:3], v[2:3], s[0:1]
	v_accvgpr_read_b32 v15, a41
	v_cvt_f32_f64_e32 v10, v[10:11]
	v_cvt_f32_f64_e32 v11, v[2:3]
	v_mad_u64_u32 v[2:3], s[6:7], s4, v13, v[6:7]
	v_mul_f32_e32 v6, v15, v9
	v_fmac_f32_e32 v6, v14, v8
	v_cvt_f64_f32_e32 v[6:7], v6
	v_add_u32_e32 v3, s3, v3
	v_mul_f64 v[6:7], v[6:7], s[0:1]
	global_store_dwordx2 v[2:3], v[10:11], off
	v_cvt_f32_f64_e32 v10, v[6:7]
	v_mul_f32_e32 v6, v15, v8
	v_fma_f32 v6, v14, v9, -v6
	v_cvt_f64_f32_e32 v[6:7], v6
	v_mul_f64 v[6:7], v[6:7], s[0:1]
	v_cvt_f32_f64_e32 v11, v[6:7]
	ds_read2_b64 v[6:9], v223 offset0:2 offset1:245
	;; [unrolled: 32-line block ×5, first 2 shown]
	v_mad_u64_u32 v[6:7], s[6:7], s4, v12, v[6:7]
	v_accvgpr_read_b32 v14, a18
	v_add_u32_e32 v7, s2, v7
	v_accvgpr_read_b32 v15, a19
	global_store_dwordx2 v[6:7], v[10:11], off
	s_waitcnt lgkmcnt(0)
	v_mul_f32_e32 v10, v15, v3
	v_fmac_f32_e32 v10, v14, v2
	v_mul_f32_e32 v2, v15, v2
	v_fma_f32 v2, v14, v3, -v2
	v_cvt_f64_f32_e32 v[10:11], v10
	v_cvt_f64_f32_e32 v[2:3], v2
	v_accvgpr_read_b32 v14, a16
	v_mul_f64 v[10:11], v[10:11], s[0:1]
	v_mul_f64 v[2:3], v[2:3], s[0:1]
	v_accvgpr_read_b32 v15, a17
	v_cvt_f32_f64_e32 v10, v[10:11]
	v_cvt_f32_f64_e32 v11, v[2:3]
	v_mad_u64_u32 v[2:3], s[6:7], s4, v12, v[6:7]
	v_mul_f32_e32 v6, v15, v9
	v_fmac_f32_e32 v6, v14, v8
	v_cvt_f64_f32_e32 v[6:7], v6
	v_add_u32_e32 v3, s2, v3
	v_mul_f64 v[6:7], v[6:7], s[0:1]
	global_store_dwordx2 v[2:3], v[10:11], off
	v_cvt_f32_f64_e32 v10, v[6:7]
	v_mul_f32_e32 v6, v15, v8
	v_fma_f32 v6, v14, v9, -v6
	v_cvt_f64_f32_e32 v[6:7], v6
	v_mul_f64 v[6:7], v[6:7], s[0:1]
	v_cvt_f32_f64_e32 v11, v[6:7]
	ds_read2_b64 v[6:9], v195 offset1:243
	v_mad_u64_u32 v[2:3], s[6:7], s4, v13, v[2:3]
	v_accvgpr_read_b32 v14, a14
	v_add_u32_e32 v3, s3, v3
	v_accvgpr_read_b32 v15, a15
	global_store_dwordx2 v[2:3], v[10:11], off
	s_waitcnt lgkmcnt(0)
	v_mul_f32_e32 v10, v15, v7
	v_fmac_f32_e32 v10, v14, v6
	v_mul_f32_e32 v6, v15, v6
	v_fma_f32 v6, v14, v7, -v6
	v_cvt_f64_f32_e32 v[10:11], v10
	v_cvt_f64_f32_e32 v[6:7], v6
	v_mul_f64 v[10:11], v[10:11], s[0:1]
	v_mul_f64 v[6:7], v[6:7], s[0:1]
	v_mad_u64_u32 v[2:3], s[6:7], s4, v12, v[2:3]
	v_cvt_f32_f64_e32 v10, v[10:11]
	v_cvt_f32_f64_e32 v11, v[6:7]
	v_add_u32_e32 v3, s2, v3
	global_store_dwordx2 v[2:3], v[10:11], off
	v_accvgpr_read_b32 v10, a10
	v_accvgpr_read_b32 v11, a11
	v_mul_f32_e32 v6, v11, v5
	v_fmac_f32_e32 v6, v10, v4
	v_mul_f32_e32 v4, v11, v4
	v_fma_f32 v4, v10, v5, -v4
	v_cvt_f64_f32_e32 v[6:7], v6
	v_cvt_f64_f32_e32 v[4:5], v4
	v_mul_f64 v[6:7], v[6:7], s[0:1]
	v_mul_f64 v[4:5], v[4:5], s[0:1]
	v_mad_u64_u32 v[2:3], s[6:7], s4, v12, v[2:3]
	v_cvt_f32_f64_e32 v6, v[6:7]
	v_cvt_f32_f64_e32 v7, v[4:5]
	v_add_u32_e32 v3, s2, v3
	global_store_dwordx2 v[2:3], v[6:7], off
	v_accvgpr_read_b32 v6, a8
	v_accvgpr_read_b32 v7, a9
	v_mul_f32_e32 v4, v7, v1
	v_fmac_f32_e32 v4, v6, v0
	v_mul_f32_e32 v0, v7, v0
	v_fma_f32 v0, v6, v1, -v0
	v_cvt_f64_f32_e32 v[4:5], v4
	v_cvt_f64_f32_e32 v[0:1], v0
	v_mul_f64 v[4:5], v[4:5], s[0:1]
	v_mul_f64 v[0:1], v[0:1], s[0:1]
	v_cvt_f32_f64_e32 v4, v[4:5]
	v_cvt_f32_f64_e32 v5, v[0:1]
	v_mad_u64_u32 v[0:1], s[6:7], s4, v13, v[2:3]
	v_add_u32_e32 v1, s3, v1
	global_store_dwordx2 v[0:1], v[4:5], off
	v_accvgpr_read_b32 v4, a6
	v_accvgpr_read_b32 v5, a7
	v_mul_f32_e32 v2, v5, v9
	v_fmac_f32_e32 v2, v4, v8
	v_cvt_f64_f32_e32 v[2:3], v2
	v_mul_f64 v[2:3], v[2:3], s[0:1]
	v_cvt_f32_f64_e32 v2, v[2:3]
	v_mul_f32_e32 v3, v5, v8
	v_fma_f32 v3, v4, v9, -v3
	v_cvt_f64_f32_e32 v[4:5], v3
	v_mul_f64 v[4:5], v[4:5], s[0:1]
	v_cvt_f32_f64_e32 v3, v[4:5]
	ds_read_b64 v[4:5], v216 offset:50544
	v_mad_u64_u32 v[0:1], s[6:7], s4, v12, v[0:1]
	v_add_u32_e32 v1, s2, v1
	v_accvgpr_read_b32 v7, a5
	global_store_dwordx2 v[0:1], v[2:3], off
	v_accvgpr_read_b32 v6, a4
	s_waitcnt lgkmcnt(0)
	v_mul_f32_e32 v2, v7, v5
	v_fmac_f32_e32 v2, v6, v4
	v_cvt_f64_f32_e32 v[2:3], v2
	v_mul_f64 v[2:3], v[2:3], s[0:1]
	v_cvt_f32_f64_e32 v2, v[2:3]
	v_mul_f32_e32 v3, v7, v4
	v_fma_f32 v3, v6, v5, -v3
	v_cvt_f64_f32_e32 v[4:5], v3
	v_mul_f64 v[4:5], v[4:5], s[0:1]
	v_mad_u64_u32 v[0:1], s[0:1], s4, v12, v[0:1]
	v_cvt_f32_f64_e32 v3, v[4:5]
	v_add_u32_e32 v1, s2, v1
	global_store_dwordx2 v[0:1], v[2:3], off
.LBB0_2:
	s_endpgm
	.section	.rodata,"a",@progbits
	.p2align	6, 0x0
	.amdhsa_kernel bluestein_single_back_len6561_dim1_sp_op_CI_CI
		.amdhsa_group_segment_fixed_size 52488
		.amdhsa_private_segment_fixed_size 0
		.amdhsa_kernarg_size 104
		.amdhsa_user_sgpr_count 2
		.amdhsa_user_sgpr_dispatch_ptr 0
		.amdhsa_user_sgpr_queue_ptr 0
		.amdhsa_user_sgpr_kernarg_segment_ptr 1
		.amdhsa_user_sgpr_dispatch_id 0
		.amdhsa_user_sgpr_kernarg_preload_length 0
		.amdhsa_user_sgpr_kernarg_preload_offset 0
		.amdhsa_user_sgpr_private_segment_size 0
		.amdhsa_uses_dynamic_stack 0
		.amdhsa_enable_private_segment 0
		.amdhsa_system_sgpr_workgroup_id_x 1
		.amdhsa_system_sgpr_workgroup_id_y 0
		.amdhsa_system_sgpr_workgroup_id_z 0
		.amdhsa_system_sgpr_workgroup_info 0
		.amdhsa_system_vgpr_workitem_id 0
		.amdhsa_next_free_vgpr 511
		.amdhsa_next_free_sgpr 17
		.amdhsa_accum_offset 256
		.amdhsa_reserve_vcc 1
		.amdhsa_float_round_mode_32 0
		.amdhsa_float_round_mode_16_64 0
		.amdhsa_float_denorm_mode_32 3
		.amdhsa_float_denorm_mode_16_64 3
		.amdhsa_dx10_clamp 1
		.amdhsa_ieee_mode 1
		.amdhsa_fp16_overflow 0
		.amdhsa_tg_split 0
		.amdhsa_exception_fp_ieee_invalid_op 0
		.amdhsa_exception_fp_denorm_src 0
		.amdhsa_exception_fp_ieee_div_zero 0
		.amdhsa_exception_fp_ieee_overflow 0
		.amdhsa_exception_fp_ieee_underflow 0
		.amdhsa_exception_fp_ieee_inexact 0
		.amdhsa_exception_int_div_zero 0
	.end_amdhsa_kernel
	.text
.Lfunc_end0:
	.size	bluestein_single_back_len6561_dim1_sp_op_CI_CI, .Lfunc_end0-bluestein_single_back_len6561_dim1_sp_op_CI_CI
                                        ; -- End function
	.section	.AMDGPU.csdata,"",@progbits
; Kernel info:
; codeLenInByte = 36536
; NumSgprs: 23
; NumVgprs: 256
; NumAgprs: 255
; TotalNumVgprs: 511
; ScratchSize: 0
; MemoryBound: 0
; FloatMode: 240
; IeeeMode: 1
; LDSByteSize: 52488 bytes/workgroup (compile time only)
; SGPRBlocks: 2
; VGPRBlocks: 63
; NumSGPRsForWavesPerEU: 23
; NumVGPRsForWavesPerEU: 511
; AccumOffset: 256
; Occupancy: 1
; WaveLimiterHint : 1
; COMPUTE_PGM_RSRC2:SCRATCH_EN: 0
; COMPUTE_PGM_RSRC2:USER_SGPR: 2
; COMPUTE_PGM_RSRC2:TRAP_HANDLER: 0
; COMPUTE_PGM_RSRC2:TGID_X_EN: 1
; COMPUTE_PGM_RSRC2:TGID_Y_EN: 0
; COMPUTE_PGM_RSRC2:TGID_Z_EN: 0
; COMPUTE_PGM_RSRC2:TIDIG_COMP_CNT: 0
; COMPUTE_PGM_RSRC3_GFX90A:ACCUM_OFFSET: 63
; COMPUTE_PGM_RSRC3_GFX90A:TG_SPLIT: 0
	.text
	.p2alignl 6, 3212836864
	.fill 256, 4, 3212836864
	.type	__hip_cuid_e049b66e790aa068,@object ; @__hip_cuid_e049b66e790aa068
	.section	.bss,"aw",@nobits
	.globl	__hip_cuid_e049b66e790aa068
__hip_cuid_e049b66e790aa068:
	.byte	0                               ; 0x0
	.size	__hip_cuid_e049b66e790aa068, 1

	.ident	"AMD clang version 19.0.0git (https://github.com/RadeonOpenCompute/llvm-project roc-6.4.0 25133 c7fe45cf4b819c5991fe208aaa96edf142730f1d)"
	.section	".note.GNU-stack","",@progbits
	.addrsig
	.addrsig_sym __hip_cuid_e049b66e790aa068
	.amdgpu_metadata
---
amdhsa.kernels:
  - .agpr_count:     255
    .args:
      - .actual_access:  read_only
        .address_space:  global
        .offset:         0
        .size:           8
        .value_kind:     global_buffer
      - .actual_access:  read_only
        .address_space:  global
        .offset:         8
        .size:           8
        .value_kind:     global_buffer
      - .actual_access:  read_only
        .address_space:  global
        .offset:         16
        .size:           8
        .value_kind:     global_buffer
      - .actual_access:  read_only
        .address_space:  global
        .offset:         24
        .size:           8
        .value_kind:     global_buffer
      - .actual_access:  read_only
        .address_space:  global
        .offset:         32
        .size:           8
        .value_kind:     global_buffer
      - .offset:         40
        .size:           8
        .value_kind:     by_value
      - .address_space:  global
        .offset:         48
        .size:           8
        .value_kind:     global_buffer
      - .address_space:  global
        .offset:         56
        .size:           8
        .value_kind:     global_buffer
      - .address_space:  global
        .offset:         64
        .size:           8
        .value_kind:     global_buffer
      - .address_space:  global
        .offset:         72
        .size:           8
        .value_kind:     global_buffer
      - .offset:         80
        .size:           4
        .value_kind:     by_value
      - .address_space:  global
        .offset:         88
        .size:           8
        .value_kind:     global_buffer
      - .address_space:  global
        .offset:         96
        .size:           8
        .value_kind:     global_buffer
    .group_segment_fixed_size: 52488
    .kernarg_segment_align: 8
    .kernarg_segment_size: 104
    .language:       OpenCL C
    .language_version:
      - 2
      - 0
    .max_flat_workgroup_size: 243
    .name:           bluestein_single_back_len6561_dim1_sp_op_CI_CI
    .private_segment_fixed_size: 0
    .sgpr_count:     23
    .sgpr_spill_count: 0
    .symbol:         bluestein_single_back_len6561_dim1_sp_op_CI_CI.kd
    .uniform_work_group_size: 1
    .uses_dynamic_stack: false
    .vgpr_count:     511
    .vgpr_spill_count: 0
    .wavefront_size: 64
amdhsa.target:   amdgcn-amd-amdhsa--gfx950
amdhsa.version:
  - 1
  - 2
...

	.end_amdgpu_metadata
